;; amdgpu-corpus repo=ROCm/rocFFT kind=compiled arch=gfx1201 opt=O3
	.text
	.amdgcn_target "amdgcn-amd-amdhsa--gfx1201"
	.amdhsa_code_object_version 6
	.protected	bluestein_single_back_len975_dim1_sp_op_CI_CI ; -- Begin function bluestein_single_back_len975_dim1_sp_op_CI_CI
	.globl	bluestein_single_back_len975_dim1_sp_op_CI_CI
	.p2align	8
	.type	bluestein_single_back_len975_dim1_sp_op_CI_CI,@function
bluestein_single_back_len975_dim1_sp_op_CI_CI: ; @bluestein_single_back_len975_dim1_sp_op_CI_CI
; %bb.0:
	s_load_b128 s[12:15], s[0:1], 0x28
	v_mul_u32_u24_e32 v1, 0x691, v0
	s_mov_b32 s2, exec_lo
	s_delay_alu instid0(VALU_DEP_1) | instskip(NEXT) | instid1(VALU_DEP_1)
	v_lshrrev_b32_e32 v1, 16, v1
	v_mad_co_u64_u32 v[182:183], null, ttmp9, 3, v[1:2]
	v_mov_b32_e32 v183, 0
	s_wait_kmcnt 0x0
	s_delay_alu instid0(VALU_DEP_1)
	v_cmpx_gt_u64_e64 s[12:13], v[182:183]
	s_cbranch_execz .LBB0_23
; %bb.1:
	s_clause 0x1
	s_load_b128 s[4:7], s[0:1], 0x18
	s_load_b64 s[12:13], s[0:1], 0x0
	v_mul_lo_u16 v1, v1, 39
	s_delay_alu instid0(VALU_DEP_1) | instskip(NEXT) | instid1(VALU_DEP_1)
	v_sub_nc_u16 v36, v0, v1
	v_and_b32_e32 v187, 0xffff, v36
	s_delay_alu instid0(VALU_DEP_1)
	v_lshlrev_b32_e32 v142, 3, v187
	s_wait_kmcnt 0x0
	s_load_b128 s[8:11], s[4:5], 0x0
	s_clause 0xa
	global_load_b64 v[195:196], v142, s[12:13]
	global_load_b64 v[197:198], v142, s[12:13] offset:600
	global_load_b64 v[193:194], v142, s[12:13] offset:1200
	;; [unrolled: 1-line block ×10, first 2 shown]
	s_wait_kmcnt 0x0
	v_mad_co_u64_u32 v[0:1], null, s10, v182, 0
	v_mad_co_u64_u32 v[2:3], null, s8, v187, 0
	s_mul_u64 s[2:3], s[8:9], 0x4b
	s_delay_alu instid0(VALU_DEP_1) | instskip(SKIP_1) | instid1(VALU_DEP_1)
	v_mad_co_u64_u32 v[4:5], null, s11, v182, v[1:2]
	s_load_b64 s[10:11], s[0:1], 0x38
	v_mad_co_u64_u32 v[5:6], null, s9, v187, v[3:4]
	v_mov_b32_e32 v1, v4
	s_delay_alu instid0(VALU_DEP_1) | instskip(NEXT) | instid1(VALU_DEP_3)
	v_lshlrev_b64_e32 v[0:1], 3, v[0:1]
	v_mov_b32_e32 v3, v5
	s_delay_alu instid0(VALU_DEP_2) | instskip(NEXT) | instid1(VALU_DEP_2)
	v_add_co_u32 v0, vcc_lo, s14, v0
	v_lshlrev_b64_e32 v[2:3], 3, v[2:3]
	s_delay_alu instid0(VALU_DEP_4) | instskip(SKIP_2) | instid1(VALU_DEP_3)
	v_add_co_ci_u32_e32 v1, vcc_lo, s15, v1, vcc_lo
	s_lshl_b64 s[14:15], s[2:3], 3
	v_add_co_u32 v168, s2, s12, v142
	v_add_co_u32 v0, vcc_lo, v0, v2
	s_wait_alu 0xfffd
	v_add_co_ci_u32_e32 v1, vcc_lo, v1, v3, vcc_lo
	v_add_co_ci_u32_e64 v169, null, s13, 0, s2
	s_wait_alu 0xfffe
	v_add_co_u32 v2, vcc_lo, v0, s14
	s_wait_alu 0xfffd
	v_add_co_ci_u32_e32 v3, vcc_lo, s15, v1, vcc_lo
	s_clause 0x1
	global_load_b64 v[8:9], v[0:1], off
	global_load_b64 v[10:11], v[2:3], off
	v_add_co_u32 v4, vcc_lo, v2, s14
	s_wait_alu 0xfffd
	v_add_co_ci_u32_e32 v5, vcc_lo, s15, v3, vcc_lo
	s_mov_b32 s3, 0
	s_delay_alu instid0(VALU_DEP_2) | instskip(SKIP_1) | instid1(VALU_DEP_2)
	v_add_co_u32 v6, vcc_lo, v4, s14
	s_wait_alu 0xfffd
	v_add_co_ci_u32_e32 v7, vcc_lo, s15, v5, vcc_lo
	s_delay_alu instid0(VALU_DEP_2) | instskip(SKIP_1) | instid1(VALU_DEP_2)
	v_add_co_u32 v0, vcc_lo, v6, s14
	s_wait_alu 0xfffd
	v_add_co_ci_u32_e32 v1, vcc_lo, s15, v7, vcc_lo
	s_clause 0x1
	global_load_b64 v[12:13], v[4:5], off
	global_load_b64 v[6:7], v[6:7], off
	v_add_co_u32 v2, vcc_lo, v0, s14
	s_wait_alu 0xfffd
	v_add_co_ci_u32_e32 v3, vcc_lo, s15, v1, vcc_lo
	global_load_b64 v[14:15], v[0:1], off
	v_add_co_u32 v0, vcc_lo, v2, s14
	s_wait_alu 0xfffd
	v_add_co_ci_u32_e32 v1, vcc_lo, s15, v3, vcc_lo
	;; [unrolled: 4-line block ×8, first 2 shown]
	global_load_b64 v[183:184], v142, s[12:13] offset:6600
	global_load_b64 v[28:29], v[2:3], off
	global_load_b64 v[185:186], v142, s[12:13] offset:7200
	global_load_b64 v[30:31], v[0:1], off
	v_mul_hi_u32 v2, 0xaaaaaaab, v182
	s_load_b128 s[4:7], s[6:7], 0x0
	v_cmp_gt_u16_e32 vcc_lo, 36, v36
	s_delay_alu instid0(VALU_DEP_2) | instskip(NEXT) | instid1(VALU_DEP_1)
	v_lshrrev_b32_e32 v2, 1, v2
	v_lshl_add_u32 v2, v2, 1, v2
	s_delay_alu instid0(VALU_DEP_1) | instskip(NEXT) | instid1(VALU_DEP_1)
	v_sub_nc_u32_e32 v2, v182, v2
	v_mul_u32_u24_e32 v136, 0x3cf, v2
	s_delay_alu instid0(VALU_DEP_1)
	v_lshlrev_b32_e32 v204, 3, v136
	s_wait_loadcnt 0x11
	s_clause 0x1
	scratch_store_b64 off, v[37:38], off
	scratch_store_b64 off, v[41:42], off offset:16
	s_wait_loadcnt 0x10
	s_clause 0x2
	scratch_store_b64 off, v[43:44], off offset:24
	scratch_store_b64 off, v[45:46], off offset:32
	;; [unrolled: 1-line block ×3, first 2 shown]
	s_wait_loadcnt 0xf
	scratch_store_b64 off, v[39:40], off offset:8 ; 8-byte Folded Spill
	s_wait_loadcnt 0xd
	v_dual_mul_f32 v32, v9, v196 :: v_dual_mul_f32 v35, v10, v198
	v_add_nc_u32_e32 v203, v142, v204
	v_dual_mul_f32 v5, v8, v196 :: v_dual_mul_f32 v34, v11, v198
	s_delay_alu instid0(VALU_DEP_3) | instskip(NEXT) | instid1(VALU_DEP_4)
	v_fmac_f32_e32 v32, v8, v195
	v_fma_f32 v35, v11, v197, -v35
	s_delay_alu instid0(VALU_DEP_4) | instskip(NEXT) | instid1(VALU_DEP_4)
	v_add_nc_u32_e32 v2, 0xc00, v203
	v_dual_fmac_f32 v34, v10, v197 :: v_dual_add_nc_u32 v3, 0x800, v203
	v_add_nc_u32_e32 v4, 0x1000, v203
	v_fma_f32 v33, v9, v195, -v5
	v_add_nc_u32_e32 v5, 0x1400, v203
	s_wait_loadcnt 0xc
	v_mul_f32_e32 v9, v12, v194
	v_mul_f32_e32 v8, v13, v194
	s_wait_loadcnt 0xb
	v_mul_f32_e32 v10, v7, v190
	ds_store_2addr_b64 v203, v[32:33], v[34:35] offset1:75
	v_mul_f32_e32 v11, v6, v190
	v_fma_f32 v9, v13, v193, -v9
	s_wait_loadcnt 0xa
	v_dual_mul_f32 v13, v14, v192 :: v_dual_fmac_f32 v8, v12, v193
	v_fmac_f32_e32 v10, v6, v189
	v_mul_f32_e32 v6, v15, v192
	v_fma_f32 v11, v7, v189, -v11
	s_wait_loadcnt 0x9
	v_mul_f32_e32 v12, v17, v42
	v_mul_f32_e32 v32, v16, v42
	v_fma_f32 v7, v15, v191, -v13
	v_fmac_f32_e32 v6, v14, v191
	s_wait_loadcnt 0x4
	v_dual_fmac_f32 v12, v16, v41 :: v_dual_mul_f32 v15, v26, v40
	v_fma_f32 v13, v17, v41, -v32
	v_mul_f32_e32 v14, v27, v40
	s_wait_loadcnt 0x2
	v_mul_f32_e32 v17, v28, v184
	v_mul_f32_e32 v16, v29, v184
	v_fma_f32 v15, v27, v39, -v15
	ds_store_2addr_b64 v3, v[6:7], v[12:13] offset0:44 offset1:119
	v_mul_f32_e32 v7, v20, v48
	ds_store_2addr_b64 v203, v[8:9], v[10:11] offset0:150 offset1:225
	v_mul_f32_e32 v8, v19, v46
	v_dual_mul_f32 v9, v18, v46 :: v_dual_mul_f32 v10, v21, v48
	v_mul_f32_e32 v6, v23, v38
	v_fma_f32 v11, v21, v47, -v7
	v_dual_mul_f32 v7, v22, v38 :: v_dual_mul_f32 v12, v25, v44
	v_dual_mul_f32 v13, v24, v44 :: v_dual_fmac_f32 v8, v18, v45
	v_fma_f32 v9, v19, v45, -v9
	s_wait_loadcnt 0x0
	v_mul_f32_e32 v19, v30, v186
	v_mul_f32_e32 v18, v31, v186
	v_fmac_f32_e32 v10, v20, v47
	v_fmac_f32_e32 v6, v22, v37
	v_fma_f32 v7, v23, v37, -v7
	v_fmac_f32_e32 v12, v24, v43
	v_fma_f32 v13, v25, v43, -v13
	v_fmac_f32_e32 v14, v26, v39
	v_fmac_f32_e32 v16, v28, v183
	v_fma_f32 v17, v29, v183, -v17
	v_fmac_f32_e32 v18, v30, v185
	v_fma_f32 v19, v31, v185, -v19
	ds_store_2addr_b64 v2, v[8:9], v[10:11] offset0:66 offset1:141
	ds_store_2addr_b64 v4, v[6:7], v[12:13] offset0:88 offset1:163
	;; [unrolled: 1-line block ×3, first 2 shown]
	ds_store_b64 v203, v[18:19] offset:7200
	s_and_saveexec_b32 s16, vcc_lo
	s_cbranch_execz .LBB0_3
; %bb.2:
	v_mad_co_u64_u32 v[0:1], null, 0xffffe518, s8, v[0:1]
	s_mul_i32 s2, s9, 0xffffe518
	s_clause 0x3
	global_load_b64 v[12:13], v[168:169], off offset:312
	global_load_b64 v[14:15], v[168:169], off offset:912
	;; [unrolled: 1-line block ×4, first 2 shown]
	s_wait_alu 0xfffe
	s_sub_co_i32 s2, s2, s8
	v_add_nc_u32_e32 v58, 0x400, v203
	s_wait_alu 0xfffe
	v_add_nc_u32_e32 v1, s2, v1
	v_add_co_u32 v6, s2, v0, s14
	s_wait_alu 0xf1ff
	s_delay_alu instid0(VALU_DEP_2) | instskip(NEXT) | instid1(VALU_DEP_2)
	v_add_co_ci_u32_e64 v7, s2, s15, v1, s2
	v_add_co_u32 v8, s2, v6, s14
	global_load_b64 v[0:1], v[0:1], off
	s_wait_alu 0xf1ff
	v_add_co_ci_u32_e64 v9, s2, s15, v7, s2
	v_add_co_u32 v10, s2, v8, s14
	s_wait_alu 0xf1ff
	s_delay_alu instid0(VALU_DEP_2) | instskip(NEXT) | instid1(VALU_DEP_2)
	v_add_co_ci_u32_e64 v11, s2, s15, v9, s2
	v_add_co_u32 v20, s2, v10, s14
	s_wait_alu 0xf1ff
	s_delay_alu instid0(VALU_DEP_2) | instskip(NEXT) | instid1(VALU_DEP_2)
	v_add_co_ci_u32_e64 v21, s2, s15, v11, s2
	v_add_co_u32 v22, s2, v20, s14
	s_wait_alu 0xf1ff
	s_delay_alu instid0(VALU_DEP_2)
	v_add_co_ci_u32_e64 v23, s2, s15, v21, s2
	global_load_b64 v[6:7], v[6:7], off
	global_load_b64 v[8:9], v[8:9], off
	global_load_b64 v[10:11], v[10:11], off
	global_load_b64 v[20:21], v[20:21], off
	global_load_b64 v[24:25], v[22:23], off
	v_add_co_u32 v22, s2, v22, s14
	s_wait_alu 0xf1ff
	v_add_co_ci_u32_e64 v23, s2, s15, v23, s2
	s_clause 0x1
	global_load_b64 v[26:27], v[168:169], off offset:2712
	global_load_b64 v[28:29], v[168:169], off offset:3312
	v_add_co_u32 v30, s2, v22, s14
	s_wait_alu 0xf1ff
	v_add_co_ci_u32_e64 v31, s2, s15, v23, s2
	global_load_b64 v[22:23], v[22:23], off
	v_add_co_u32 v32, s2, v30, s14
	s_wait_alu 0xf1ff
	v_add_co_ci_u32_e64 v33, s2, s15, v31, s2
	global_load_b64 v[30:31], v[30:31], off
	v_add_co_u32 v34, s2, v32, s14
	s_wait_alu 0xf1ff
	v_add_co_ci_u32_e64 v35, s2, s15, v33, s2
	s_clause 0x1
	global_load_b64 v[36:37], v[168:169], off offset:3912
	global_load_b64 v[38:39], v[168:169], off offset:4512
	v_add_co_u32 v40, s2, v34, s14
	s_wait_alu 0xf1ff
	v_add_co_ci_u32_e64 v41, s2, s15, v35, s2
	global_load_b64 v[32:33], v[32:33], off
	global_load_b64 v[34:35], v[34:35], off
	s_clause 0x1
	global_load_b64 v[42:43], v[168:169], off offset:5112
	global_load_b64 v[44:45], v[168:169], off offset:5712
	global_load_b64 v[46:47], v[40:41], off
	v_add_co_u32 v40, s2, v40, s14
	s_wait_alu 0xf1ff
	v_add_co_ci_u32_e64 v41, s2, s15, v41, s2
	global_load_b64 v[48:49], v[168:169], off offset:6312
	v_add_co_u32 v50, s2, v40, s14
	s_wait_alu 0xf1ff
	v_add_co_ci_u32_e64 v51, s2, s15, v41, s2
	global_load_b64 v[40:41], v[40:41], off
	s_clause 0x1
	global_load_b64 v[52:53], v[168:169], off offset:6912
	global_load_b64 v[54:55], v[168:169], off offset:7512
	global_load_b64 v[50:51], v[50:51], off
	s_wait_loadcnt 0x15
	v_dual_mul_f32 v56, v1, v13 :: v_dual_add_nc_u32 v59, 0x1800, v203
	v_mul_f32_e32 v57, v0, v13
	s_delay_alu instid0(VALU_DEP_1) | instskip(SKIP_1) | instid1(VALU_DEP_3)
	v_fma_f32 v57, v1, v12, -v57
	s_wait_loadcnt 0x14
	v_dual_mul_f32 v13, v7, v15 :: v_dual_fmac_f32 v56, v0, v12
	s_wait_loadcnt 0x13
	v_dual_mul_f32 v1, v6, v15 :: v_dual_mul_f32 v12, v8, v17
	s_delay_alu instid0(VALU_DEP_2)
	v_dual_mul_f32 v0, v9, v17 :: v_dual_fmac_f32 v13, v6, v14
	s_wait_loadcnt 0x12
	v_mul_f32_e32 v6, v11, v19
	v_mul_f32_e32 v15, v10, v19
	v_fma_f32 v14, v7, v14, -v1
	v_fmac_f32_e32 v0, v8, v16
	v_fma_f32 v1, v9, v16, -v12
	s_wait_loadcnt 0xf
	v_dual_fmac_f32 v6, v10, v18 :: v_dual_mul_f32 v9, v20, v27
	v_fma_f32 v7, v11, v18, -v15
	v_mul_f32_e32 v8, v21, v27
	ds_store_2addr_b64 v203, v[56:57], v[13:14] offset0:39 offset1:114
	s_wait_loadcnt 0xe
	v_mul_f32_e32 v10, v25, v29
	v_fma_f32 v9, v21, v26, -v9
	ds_store_2addr_b64 v58, v[0:1], v[6:7] offset0:61 offset1:136
	v_mul_f32_e32 v1, v24, v29
	s_wait_loadcnt 0xb
	v_dual_fmac_f32 v8, v20, v26 :: v_dual_mul_f32 v7, v22, v37
	s_wait_loadcnt 0xa
	v_dual_mul_f32 v13, v30, v39 :: v_dual_mul_f32 v0, v23, v37
	v_mul_f32_e32 v6, v31, v39
	s_wait_loadcnt 0x6
	v_dual_fmac_f32 v10, v24, v28 :: v_dual_mul_f32 v15, v34, v45
	v_fma_f32 v11, v25, v28, -v1
	v_fma_f32 v1, v23, v36, -v7
	v_mul_f32_e32 v12, v33, v43
	v_fma_f32 v7, v31, v38, -v13
	v_dual_mul_f32 v13, v32, v43 :: v_dual_mul_f32 v14, v35, v45
	v_fmac_f32_e32 v0, v22, v36
	s_wait_loadcnt 0x4
	v_mul_f32_e32 v16, v47, v49
	s_wait_loadcnt 0x2
	v_mul_f32_e32 v19, v40, v53
	v_mul_f32_e32 v17, v46, v49
	;; [unrolled: 1-line block ×3, first 2 shown]
	s_wait_loadcnt 0x0
	v_mul_f32_e32 v20, v51, v55
	v_mul_f32_e32 v21, v50, v55
	v_fmac_f32_e32 v6, v30, v38
	v_fmac_f32_e32 v12, v32, v42
	v_fma_f32 v13, v33, v42, -v13
	v_fmac_f32_e32 v14, v34, v44
	v_fma_f32 v15, v35, v44, -v15
	;; [unrolled: 2-line block ×5, first 2 shown]
	ds_store_2addr_b64 v3, v[8:9], v[10:11] offset0:83 offset1:158
	ds_store_2addr_b64 v2, v[0:1], v[6:7] offset0:105 offset1:180
	;; [unrolled: 1-line block ×4, first 2 shown]
	ds_store_b64 v203, v[20:21] offset:7512
.LBB0_3:
	s_or_b32 exec_lo, exec_lo, s16
	global_wb scope:SCOPE_SE
	s_wait_storecnt_dscnt 0x0
	s_wait_kmcnt 0x0
	s_barrier_signal -1
	s_barrier_wait -1
	global_inv scope:SCOPE_SE
	ds_load_2addr_b64 v[44:47], v203 offset1:75
	ds_load_2addr_b64 v[36:39], v203 offset0:150 offset1:225
	ds_load_2addr_b64 v[28:31], v3 offset0:44 offset1:119
	;; [unrolled: 1-line block ×5, first 2 shown]
	ds_load_b64 v[50:51], v203 offset:7200
	s_load_b64 s[8:9], s[0:1], 0x8
	v_mov_b32_e32 v0, 0
	v_dual_mov_b32 v1, 0 :: v_dual_mov_b32 v188, s3
                                        ; implicit-def: $vgpr14
                                        ; implicit-def: $vgpr8
                                        ; implicit-def: $vgpr4
                                        ; implicit-def: $vgpr48
                                        ; implicit-def: $vgpr18
                                        ; implicit-def: $vgpr22
	s_and_saveexec_b32 s0, vcc_lo
	s_cbranch_execz .LBB0_5
; %bb.4:
	v_add_nc_u32_e32 v4, 0x400, v203
	v_add_nc_u32_e32 v5, 0x800, v203
	;; [unrolled: 1-line block ×5, first 2 shown]
	ds_load_2addr_b64 v[0:3], v203 offset0:39 offset1:114
	ds_load_2addr_b64 v[20:23], v4 offset0:61 offset1:136
	;; [unrolled: 1-line block ×6, first 2 shown]
	ds_load_b64 v[48:49], v203 offset:7512
.LBB0_5:
	s_wait_alu 0xfffe
	s_or_b32 exec_lo, exec_lo, s0
	s_wait_dscnt 0x6
	v_dual_add_f32 v52, v44, v46 :: v_dual_add_f32 v53, v45, v47
	s_wait_dscnt 0x0
	v_dual_add_f32 v55, v50, v46 :: v_dual_sub_f32 v56, v47, v51
	v_dual_sub_f32 v57, v46, v50 :: v_dual_add_f32 v58, v51, v47
	s_delay_alu instid0(VALU_DEP_3) | instskip(NEXT) | instid1(VALU_DEP_2)
	v_dual_add_f32 v54, v52, v36 :: v_dual_add_f32 v53, v53, v37
	v_dual_mul_f32 v61, 0xbf7e222b, v56 :: v_dual_mul_f32 v62, 0xbf7e222b, v57
	v_mul_lo_u16 v95, v187, 13
	s_delay_alu instid0(VALU_DEP_3) | instskip(NEXT) | instid1(VALU_DEP_3)
	v_dual_add_f32 v54, v54, v38 :: v_dual_add_f32 v53, v53, v39
	v_fma_f32 v68, 0x3df6dbef, v55, -v61
	v_add_co_u32 v137, s0, v187, 39
	s_delay_alu instid0(VALU_DEP_3) | instskip(SKIP_2) | instid1(VALU_DEP_3)
	v_dual_add_f32 v46, v54, v28 :: v_dual_add_f32 v47, v53, v29
	v_mul_f32_e32 v59, 0xbf52af12, v56
	v_dual_mul_f32 v53, 0xbeedf032, v56 :: v_dual_mul_f32 v54, 0xbeedf032, v57
	v_dual_add_f32 v46, v46, v30 :: v_dual_add_f32 v47, v47, v31
	v_mul_f32_e32 v60, 0xbf52af12, v57
	s_delay_alu instid0(VALU_DEP_3) | instskip(NEXT) | instid1(VALU_DEP_4)
	v_fma_f32 v64, 0x3f62ad3f, v55, -v53
	v_fmamk_f32 v65, v58, 0x3f62ad3f, v54
	s_delay_alu instid0(VALU_DEP_4) | instskip(SKIP_3) | instid1(VALU_DEP_4)
	v_dual_add_f32 v46, v46, v24 :: v_dual_add_f32 v47, v47, v25
	v_mul_f32_e32 v63, 0xbf6f5d39, v56
	v_fma_f32 v54, 0x3f62ad3f, v58, -v54
	v_fmamk_f32 v67, v58, 0x3f116cb1, v60
	v_dual_add_f32 v46, v46, v26 :: v_dual_add_f32 v47, v47, v27
	v_fma_f32 v60, 0x3f116cb1, v58, -v60
	v_add_f32_e32 v64, v44, v64
	v_fma_f32 v66, 0x3f116cb1, v55, -v59
	s_delay_alu instid0(VALU_DEP_4) | instskip(SKIP_1) | instid1(VALU_DEP_3)
	v_dual_add_f32 v46, v46, v32 :: v_dual_fmac_f32 v53, 0x3f62ad3f, v55
	v_dual_fmac_f32 v59, 0x3f116cb1, v55 :: v_dual_add_f32 v54, v45, v54
	v_add_f32_e32 v66, v44, v66
	s_delay_alu instid0(VALU_DEP_3) | instskip(NEXT) | instid1(VALU_DEP_4)
	v_dual_add_f32 v46, v46, v34 :: v_dual_add_f32 v47, v47, v33
	v_add_f32_e32 v53, v44, v53
	v_and_b32_e32 v95, 0xffff, v95
	s_wait_alu 0xf1ff
	v_add_co_ci_u32_e64 v52, null, 0, 0, s0
	v_dual_add_f32 v46, v46, v40 :: v_dual_add_f32 v47, v47, v35
	s_delay_alu instid0(VALU_DEP_3)
	v_lshl_add_u32 v217, v95, 3, v204
	v_add_f32_e32 v60, v45, v60
	global_wb scope:SCOPE_SE
	v_dual_add_f32 v46, v46, v42 :: v_dual_add_f32 v47, v47, v41
	v_add_f32_e32 v65, v45, v65
	s_wait_kmcnt 0x0
	s_barrier_signal -1
	s_barrier_wait -1
	v_add_f32_e32 v46, v46, v50
	v_dual_fmamk_f32 v50, v58, 0x3df6dbef, v62 :: v_dual_add_f32 v47, v47, v43
	v_mul_f32_e32 v70, 0xbf29c268, v56
	v_mul_f32_e32 v72, 0xbf29c268, v57
	v_fma_f32 v62, 0x3df6dbef, v58, -v62
	s_delay_alu instid0(VALU_DEP_4) | instskip(NEXT) | instid1(VALU_DEP_4)
	v_dual_add_f32 v50, v45, v50 :: v_dual_add_f32 v47, v47, v51
	v_fma_f32 v73, 0xbf3f9e67, v55, -v70
	v_add_f32_e32 v51, v44, v68
	v_fma_f32 v68, 0xbeb58ec6, v55, -v63
	v_add_f32_e32 v67, v45, v67
	v_dual_add_f32 v59, v44, v59 :: v_dual_add_f32 v62, v45, v62
	v_dual_add_f32 v73, v44, v73 :: v_dual_fmac_f32 v70, 0xbf3f9e67, v55
	s_delay_alu instid0(VALU_DEP_4)
	v_dual_mul_f32 v69, 0xbf6f5d39, v57 :: v_dual_add_f32 v68, v44, v68
	v_sub_f32_e32 v76, v37, v43
	global_inv scope:SCOPE_SE
	v_dual_add_f32 v70, v44, v70 :: v_dual_fmamk_f32 v71, v58, 0xbeb58ec6, v69
	v_fma_f32 v69, 0xbeb58ec6, v58, -v69
	v_fmamk_f32 v74, v58, 0xbf3f9e67, v72
	v_fmac_f32_e32 v61, 0x3df6dbef, v55
	v_fma_f32 v72, 0xbf3f9e67, v58, -v72
	v_fmac_f32_e32 v63, 0xbeb58ec6, v55
	v_add_f32_e32 v71, v45, v71
	v_dual_add_f32 v69, v45, v69 :: v_dual_mul_f32 v56, 0xbe750f2a, v56
	v_dual_add_f32 v74, v45, v74 :: v_dual_add_f32 v61, v44, v61
	s_delay_alu instid0(VALU_DEP_4)
	v_dual_add_f32 v72, v45, v72 :: v_dual_add_f32 v63, v44, v63
	v_add_f32_e32 v78, v42, v36
	v_sub_f32_e32 v36, v36, v42
	v_fma_f32 v75, 0xbf788fa5, v55, -v56
	v_dual_fmac_f32 v56, 0xbf788fa5, v55 :: v_dual_add_f32 v37, v43, v37
	v_mul_f32_e32 v57, 0xbe750f2a, v57
	s_delay_alu instid0(VALU_DEP_4) | instskip(NEXT) | instid1(VALU_DEP_4)
	v_mul_f32_e32 v43, 0xbf52af12, v36
	v_add_f32_e32 v75, v44, v75
	s_delay_alu instid0(VALU_DEP_4) | instskip(NEXT) | instid1(VALU_DEP_4)
	v_add_f32_e32 v44, v44, v56
	v_fma_f32 v42, 0xbf788fa5, v58, -v57
	s_delay_alu instid0(VALU_DEP_4)
	v_fmamk_f32 v56, v37, 0x3f116cb1, v43
	v_mul_f32_e32 v79, 0xbf52af12, v76
	v_fmamk_f32 v77, v58, 0xbf788fa5, v57
	v_fma_f32 v43, 0x3f116cb1, v37, -v43
	v_dual_add_f32 v42, v45, v42 :: v_dual_mul_f32 v57, 0xbf6f5d39, v36
	v_add_f32_e32 v56, v56, v65
	v_fma_f32 v55, 0x3f116cb1, v78, -v79
	v_add_f32_e32 v77, v45, v77
	s_delay_alu instid0(VALU_DEP_4) | instskip(SKIP_1) | instid1(VALU_DEP_4)
	v_dual_add_f32 v43, v43, v54 :: v_dual_fmamk_f32 v54, v37, 0xbeb58ec6, v57
	v_fma_f32 v57, 0xbeb58ec6, v37, -v57
	v_add_f32_e32 v45, v55, v64
	v_mul_f32_e32 v65, 0xbe750f2a, v36
	v_mul_f32_e32 v64, 0xbe750f2a, v76
	s_delay_alu instid0(VALU_DEP_4) | instskip(SKIP_1) | instid1(VALU_DEP_4)
	v_dual_add_f32 v54, v54, v67 :: v_dual_add_f32 v57, v57, v60
	v_mul_f32_e32 v67, 0x3f7e222b, v36
	v_fmamk_f32 v60, v37, 0xbf788fa5, v65
	s_delay_alu instid0(VALU_DEP_1) | instskip(NEXT) | instid1(VALU_DEP_1)
	v_dual_mul_f32 v55, 0xbf6f5d39, v76 :: v_dual_add_f32 v50, v60, v50
	v_fma_f32 v58, 0xbeb58ec6, v78, -v55
	v_fmac_f32_e32 v55, 0xbeb58ec6, v78
	v_mul_f32_e32 v60, 0x3f29c268, v36
	v_mul_f32_e32 v36, 0x3eedf032, v36
	s_delay_alu instid0(VALU_DEP_4) | instskip(SKIP_3) | instid1(VALU_DEP_3)
	v_add_f32_e32 v58, v58, v66
	v_fma_f32 v66, 0xbf788fa5, v78, -v64
	v_dual_add_f32 v55, v55, v59 :: v_dual_fmac_f32 v64, 0xbf788fa5, v78
	v_mul_f32_e32 v59, 0x3f29c268, v76
	v_add_f32_e32 v51, v66, v51
	s_delay_alu instid0(VALU_DEP_3) | instskip(NEXT) | instid1(VALU_DEP_3)
	v_add_f32_e32 v61, v64, v61
	v_fma_f32 v66, 0xbf3f9e67, v78, -v59
	s_delay_alu instid0(VALU_DEP_1) | instskip(NEXT) | instid1(VALU_DEP_1)
	v_dual_fmac_f32 v79, 0x3f116cb1, v78 :: v_dual_add_f32 v64, v66, v68
	v_dual_add_f32 v53, v79, v53 :: v_dual_fmamk_f32 v66, v37, 0xbf3f9e67, v60
	v_fma_f32 v60, 0xbf3f9e67, v37, -v60
	s_delay_alu instid0(VALU_DEP_2) | instskip(NEXT) | instid1(VALU_DEP_2)
	v_add_f32_e32 v66, v66, v71
	v_add_f32_e32 v60, v60, v69
	v_fma_f32 v65, 0xbf788fa5, v37, -v65
	s_delay_alu instid0(VALU_DEP_1) | instskip(SKIP_1) | instid1(VALU_DEP_2)
	v_dual_mul_f32 v69, 0x3eedf032, v76 :: v_dual_add_f32 v62, v65, v62
	v_mul_f32_e32 v65, 0x3f7e222b, v76
	v_fma_f32 v71, 0x3f62ad3f, v78, -v69
	v_fmac_f32_e32 v69, 0x3f62ad3f, v78
	s_delay_alu instid0(VALU_DEP_3) | instskip(NEXT) | instid1(VALU_DEP_1)
	v_fma_f32 v68, 0x3df6dbef, v78, -v65
	v_dual_fmac_f32 v65, 0x3df6dbef, v78 :: v_dual_add_f32 v68, v68, v73
	s_delay_alu instid0(VALU_DEP_1) | instskip(SKIP_4) | instid1(VALU_DEP_2)
	v_dual_add_f32 v65, v65, v70 :: v_dual_sub_f32 v70, v39, v41
	v_fmac_f32_e32 v59, 0xbf3f9e67, v78
	v_fmamk_f32 v73, v37, 0x3f62ad3f, v36
	v_fma_f32 v36, 0x3f62ad3f, v37, -v36
	v_add_f32_e32 v39, v41, v39
	v_dual_add_f32 v59, v59, v63 :: v_dual_add_f32 v36, v36, v42
	v_mul_f32_e32 v42, 0xbe750f2a, v70
	v_fmamk_f32 v63, v37, 0x3df6dbef, v67
	v_fma_f32 v67, 0x3df6dbef, v37, -v67
	s_delay_alu instid0(VALU_DEP_1) | instskip(SKIP_2) | instid1(VALU_DEP_3)
	v_dual_add_f32 v67, v67, v72 :: v_dual_add_f32 v72, v40, v38
	v_dual_sub_f32 v38, v38, v40 :: v_dual_add_f32 v71, v71, v75
	v_add_f32_e32 v41, v69, v44
	v_fma_f32 v69, 0xbf788fa5, v72, -v42
	s_delay_alu instid0(VALU_DEP_3) | instskip(SKIP_1) | instid1(VALU_DEP_2)
	v_mul_f32_e32 v40, 0xbf7e222b, v38
	v_fmac_f32_e32 v42, 0xbf788fa5, v72
	v_fmamk_f32 v44, v39, 0x3df6dbef, v40
	v_add_f32_e32 v63, v63, v74
	v_mul_f32_e32 v74, 0xbf7e222b, v70
	v_fma_f32 v40, 0x3df6dbef, v39, -v40
	v_add_f32_e32 v42, v42, v55
	v_dual_add_f32 v44, v44, v56 :: v_dual_add_f32 v73, v73, v77
	s_delay_alu instid0(VALU_DEP_4) | instskip(SKIP_3) | instid1(VALU_DEP_4)
	v_fma_f32 v37, 0x3df6dbef, v72, -v74
	v_fmac_f32_e32 v74, 0x3df6dbef, v72
	v_add_f32_e32 v56, v69, v58
	v_mul_f32_e32 v58, 0x3f6f5d39, v70
	v_dual_add_f32 v40, v40, v43 :: v_dual_add_f32 v37, v37, v45
	v_mul_f32_e32 v45, 0xbe750f2a, v38
	v_add_f32_e32 v53, v74, v53
	s_delay_alu instid0(VALU_DEP_4) | instskip(SKIP_1) | instid1(VALU_DEP_4)
	v_fma_f32 v69, 0xbeb58ec6, v72, -v58
	v_fmac_f32_e32 v58, 0xbeb58ec6, v72
	v_fmamk_f32 v43, v39, 0xbf788fa5, v45
	v_fma_f32 v45, 0xbf788fa5, v39, -v45
	s_delay_alu instid0(VALU_DEP_3) | instskip(NEXT) | instid1(VALU_DEP_3)
	v_dual_add_f32 v51, v69, v51 :: v_dual_add_f32 v58, v58, v61
	v_add_f32_e32 v43, v43, v54
	s_delay_alu instid0(VALU_DEP_3) | instskip(NEXT) | instid1(VALU_DEP_1)
	v_dual_mul_f32 v54, 0x3f6f5d39, v38 :: v_dual_add_f32 v45, v45, v57
	v_fmamk_f32 v57, v39, 0xbeb58ec6, v54
	v_fma_f32 v54, 0xbeb58ec6, v39, -v54
	s_delay_alu instid0(VALU_DEP_2) | instskip(NEXT) | instid1(VALU_DEP_2)
	v_add_f32_e32 v50, v57, v50
	v_add_f32_e32 v54, v54, v62
	v_mul_f32_e32 v62, 0xbf52af12, v70
	v_mul_f32_e32 v57, 0x3eedf032, v38
	s_delay_alu instid0(VALU_DEP_2) | instskip(SKIP_1) | instid1(VALU_DEP_1)
	v_fma_f32 v74, 0x3f116cb1, v72, -v62
	v_fmac_f32_e32 v62, 0x3f116cb1, v72
	v_dual_mul_f32 v55, 0x3eedf032, v70 :: v_dual_add_f32 v62, v62, v65
	s_delay_alu instid0(VALU_DEP_1) | instskip(SKIP_1) | instid1(VALU_DEP_2)
	v_fma_f32 v69, 0x3f62ad3f, v72, -v55
	v_fmac_f32_e32 v55, 0x3f62ad3f, v72
	v_dual_add_f32 v61, v69, v64 :: v_dual_fmamk_f32 v64, v39, 0x3f62ad3f, v57
	v_mul_f32_e32 v69, 0xbf52af12, v38
	v_fma_f32 v57, 0x3f62ad3f, v39, -v57
	s_delay_alu instid0(VALU_DEP_4) | instskip(NEXT) | instid1(VALU_DEP_4)
	v_dual_add_f32 v55, v55, v59 :: v_dual_mul_f32 v38, 0xbf29c268, v38
	v_add_f32_e32 v64, v64, v66
	v_mul_f32_e32 v66, 0xbf29c268, v70
	v_fmamk_f32 v59, v39, 0x3f116cb1, v69
	v_add_f32_e32 v57, v57, v60
	v_dual_add_f32 v60, v74, v68 :: v_dual_sub_f32 v65, v29, v35
	s_delay_alu instid0(VALU_DEP_4) | instskip(NEXT) | instid1(VALU_DEP_4)
	v_fma_f32 v68, 0xbf3f9e67, v72, -v66
	v_dual_fmac_f32 v66, 0xbf3f9e67, v72 :: v_dual_add_f32 v59, v59, v63
	v_fma_f32 v63, 0x3f116cb1, v39, -v69
	s_delay_alu instid0(VALU_DEP_4) | instskip(SKIP_2) | instid1(VALU_DEP_4)
	v_mul_f32_e32 v70, 0xbf6f5d39, v65
	v_add_f32_e32 v29, v35, v29
	v_fmamk_f32 v69, v39, 0xbf3f9e67, v38
	v_add_f32_e32 v63, v63, v67
	v_dual_add_f32 v67, v68, v71 :: v_dual_add_f32 v68, v34, v28
	v_sub_f32_e32 v28, v28, v34
	v_fma_f32 v34, 0xbf3f9e67, v39, -v38
	v_add_f32_e32 v39, v66, v41
	s_delay_alu instid0(VALU_DEP_4) | instskip(SKIP_3) | instid1(VALU_DEP_4)
	v_fma_f32 v38, 0xbeb58ec6, v68, -v70
	v_fmac_f32_e32 v70, 0xbeb58ec6, v68
	v_mul_f32_e32 v35, 0xbf6f5d39, v28
	v_add_f32_e32 v34, v34, v36
	v_add_f32_e32 v36, v38, v37
	v_mul_f32_e32 v37, 0x3f29c268, v65
	s_delay_alu instid0(VALU_DEP_4) | instskip(NEXT) | instid1(VALU_DEP_2)
	v_fmamk_f32 v38, v29, 0xbeb58ec6, v35
	v_fma_f32 v66, 0xbf3f9e67, v68, -v37
	s_delay_alu instid0(VALU_DEP_2) | instskip(SKIP_1) | instid1(VALU_DEP_3)
	v_add_f32_e32 v38, v38, v44
	v_add_f32_e32 v44, v70, v53
	v_dual_add_f32 v53, v66, v56 :: v_dual_mul_f32 v56, 0x3eedf032, v65
	s_delay_alu instid0(VALU_DEP_1) | instskip(SKIP_2) | instid1(VALU_DEP_2)
	v_fma_f32 v66, 0x3f62ad3f, v68, -v56
	v_fmac_f32_e32 v56, 0x3f62ad3f, v68
	v_fma_f32 v35, 0xbeb58ec6, v29, -v35
	v_dual_add_f32 v51, v66, v51 :: v_dual_add_f32 v56, v56, v58
	v_mul_f32_e32 v58, 0x3e750f2a, v65
	v_fmac_f32_e32 v37, 0xbf3f9e67, v68
	s_delay_alu instid0(VALU_DEP_4) | instskip(NEXT) | instid1(VALU_DEP_3)
	v_add_f32_e32 v35, v35, v40
	v_fma_f32 v70, 0xbf788fa5, v68, -v58
	s_delay_alu instid0(VALU_DEP_3) | instskip(SKIP_1) | instid1(VALU_DEP_2)
	v_dual_add_f32 v37, v37, v42 :: v_dual_mul_f32 v42, 0xbf7e222b, v65
	v_fmac_f32_e32 v58, 0xbf788fa5, v68
	v_fma_f32 v66, 0x3df6dbef, v68, -v42
	s_delay_alu instid0(VALU_DEP_2) | instskip(SKIP_2) | instid1(VALU_DEP_3)
	v_dual_mul_f32 v41, 0x3f29c268, v28 :: v_dual_add_f32 v58, v58, v62
	v_fmac_f32_e32 v42, 0x3df6dbef, v68
	v_dual_sub_f32 v62, v31, v33 :: v_dual_add_f32 v31, v33, v31
	v_fmamk_f32 v40, v29, 0xbf3f9e67, v41
	v_add_f32_e32 v69, v69, v73
	v_fma_f32 v41, 0xbf3f9e67, v29, -v41
	v_add_f32_e32 v42, v42, v55
	s_delay_alu instid0(VALU_DEP_4) | instskip(NEXT) | instid1(VALU_DEP_3)
	v_dual_add_f32 v40, v40, v43 :: v_dual_mul_f32 v43, 0x3eedf032, v28
	v_add_f32_e32 v41, v41, v45
	s_delay_alu instid0(VALU_DEP_2) | instskip(SKIP_1) | instid1(VALU_DEP_2)
	v_fmamk_f32 v45, v29, 0x3f62ad3f, v43
	v_fma_f32 v43, 0x3f62ad3f, v29, -v43
	v_dual_add_f32 v45, v45, v50 :: v_dual_mul_f32 v50, 0xbf7e222b, v28
	s_delay_alu instid0(VALU_DEP_2) | instskip(SKIP_1) | instid1(VALU_DEP_3)
	v_dual_add_f32 v43, v43, v54 :: v_dual_add_f32 v54, v66, v61
	v_mul_f32_e32 v66, 0x3e750f2a, v28
	v_fmamk_f32 v61, v29, 0x3df6dbef, v50
	v_fma_f32 v50, 0x3df6dbef, v29, -v50
	s_delay_alu instid0(VALU_DEP_3) | instskip(NEXT) | instid1(VALU_DEP_2)
	v_fmamk_f32 v55, v29, 0xbf788fa5, v66
	v_dual_add_f32 v61, v61, v64 :: v_dual_add_f32 v50, v50, v57
	v_dual_add_f32 v57, v70, v60 :: v_dual_mul_f32 v60, 0x3f52af12, v65
	s_delay_alu instid0(VALU_DEP_3) | instskip(SKIP_4) | instid1(VALU_DEP_4)
	v_add_f32_e32 v55, v55, v59
	v_fma_f32 v59, 0xbf788fa5, v29, -v66
	v_mul_f32_e32 v66, 0xbf29c268, v62
	v_mul_f32_e32 v28, 0x3f52af12, v28
	v_fma_f32 v64, 0x3f116cb1, v68, -v60
	v_dual_fmac_f32 v60, 0x3f116cb1, v68 :: v_dual_add_f32 v59, v59, v63
	s_delay_alu instid0(VALU_DEP_3) | instskip(NEXT) | instid1(VALU_DEP_3)
	v_fmamk_f32 v65, v29, 0x3f116cb1, v28
	v_add_f32_e32 v63, v64, v67
	v_add_f32_e32 v64, v32, v30
	v_sub_f32_e32 v30, v30, v32
	v_fma_f32 v28, 0x3f116cb1, v29, -v28
	s_delay_alu instid0(VALU_DEP_3) | instskip(NEXT) | instid1(VALU_DEP_3)
	v_fma_f32 v29, 0xbf3f9e67, v64, -v66
	v_mul_f32_e32 v32, 0xbf29c268, v30
	s_delay_alu instid0(VALU_DEP_3) | instskip(SKIP_1) | instid1(VALU_DEP_3)
	v_dual_add_f32 v28, v28, v34 :: v_dual_add_f32 v65, v65, v69
	v_dual_mul_f32 v34, 0x3f7e222b, v62 :: v_dual_add_f32 v33, v60, v39
	v_dual_add_f32 v29, v29, v36 :: v_dual_fmamk_f32 v36, v31, 0xbf3f9e67, v32
	v_fma_f32 v32, 0xbf3f9e67, v31, -v32
	v_mul_f32_e32 v39, 0x3f7e222b, v30
	s_delay_alu instid0(VALU_DEP_4) | instskip(SKIP_2) | instid1(VALU_DEP_4)
	v_fma_f32 v60, 0x3df6dbef, v64, -v34
	v_fmac_f32_e32 v34, 0x3df6dbef, v64
	v_add_f32_e32 v36, v36, v38
	v_dual_add_f32 v32, v32, v35 :: v_dual_fmamk_f32 v35, v31, 0x3df6dbef, v39
	v_fma_f32 v39, 0x3df6dbef, v31, -v39
	v_fmac_f32_e32 v66, 0xbf3f9e67, v64
	s_delay_alu instid0(VALU_DEP_3) | instskip(NEXT) | instid1(VALU_DEP_3)
	v_dual_add_f32 v34, v34, v37 :: v_dual_add_f32 v35, v35, v40
	v_dual_mul_f32 v40, 0xbf52af12, v30 :: v_dual_add_f32 v37, v39, v41
	s_delay_alu instid0(VALU_DEP_3) | instskip(SKIP_2) | instid1(VALU_DEP_4)
	v_add_f32_e32 v38, v66, v44
	v_dual_add_f32 v44, v60, v53 :: v_dual_mul_f32 v53, 0xbf52af12, v62
	v_mul_f32_e32 v39, 0x3e750f2a, v62
	v_fmamk_f32 v41, v31, 0x3f116cb1, v40
	v_fma_f32 v40, 0x3f116cb1, v31, -v40
	s_delay_alu instid0(VALU_DEP_4) | instskip(NEXT) | instid1(VALU_DEP_2)
	v_fma_f32 v60, 0x3f116cb1, v64, -v53
	v_dual_fmac_f32 v53, 0x3f116cb1, v64 :: v_dual_add_f32 v40, v40, v43
	s_delay_alu instid0(VALU_DEP_4) | instskip(NEXT) | instid1(VALU_DEP_3)
	v_add_f32_e32 v41, v41, v45
	v_add_f32_e32 v51, v60, v51
	v_fma_f32 v60, 0xbf788fa5, v64, -v39
	s_delay_alu instid0(VALU_DEP_1) | instskip(SKIP_2) | instid1(VALU_DEP_2)
	v_add_f32_e32 v43, v60, v54
	v_mul_f32_e32 v54, 0x3eedf032, v62
	v_mul_f32_e32 v60, 0x3eedf032, v30
	v_fma_f32 v66, 0x3f62ad3f, v64, -v54
	v_mul_f32_e32 v45, 0x3e750f2a, v30
	v_add_f32_e32 v53, v53, v56
	v_fmac_f32_e32 v54, 0x3f62ad3f, v64
	s_delay_alu instid0(VALU_DEP_3) | instskip(SKIP_1) | instid1(VALU_DEP_3)
	v_fmamk_f32 v56, v31, 0xbf788fa5, v45
	v_fma_f32 v45, 0xbf788fa5, v31, -v45
	v_dual_fmac_f32 v39, 0xbf788fa5, v64 :: v_dual_add_f32 v54, v54, v58
	v_sub_f32_e32 v58, v25, v27
	s_delay_alu instid0(VALU_DEP_4) | instskip(SKIP_1) | instid1(VALU_DEP_4)
	v_add_f32_e32 v56, v56, v61
	v_add_f32_e32 v27, v27, v25
	;; [unrolled: 1-line block ×3, first 2 shown]
	v_dual_add_f32 v42, v45, v50 :: v_dual_fmamk_f32 v45, v31, 0x3f62ad3f, v60
	v_add_f32_e32 v50, v66, v57
	s_delay_alu instid0(VALU_DEP_2) | instskip(SKIP_1) | instid1(VALU_DEP_1)
	v_dual_sub_f32 v66, v12, v14 :: v_dual_add_f32 v45, v45, v55
	v_fma_f32 v55, 0x3f62ad3f, v31, -v60
	v_dual_mul_f32 v30, 0xbf6f5d39, v30 :: v_dual_add_f32 v55, v55, v59
	s_delay_alu instid0(VALU_DEP_1) | instskip(SKIP_3) | instid1(VALU_DEP_3)
	v_fmamk_f32 v61, v31, 0xbeb58ec6, v30
	v_dual_mul_f32 v57, 0xbf6f5d39, v62 :: v_dual_add_f32 v62, v26, v24
	v_sub_f32_e32 v26, v24, v26
	v_fma_f32 v24, 0xbeb58ec6, v31, -v30
	v_fma_f32 v60, 0xbeb58ec6, v64, -v57
	s_delay_alu instid0(VALU_DEP_2) | instskip(NEXT) | instid1(VALU_DEP_2)
	v_add_f32_e32 v88, v24, v28
	v_dual_mul_f32 v28, 0x3eedf032, v58 :: v_dual_add_f32 v59, v60, v63
	v_dual_add_f32 v60, v61, v65 :: v_dual_mul_f32 v61, 0xbe750f2a, v58
	v_fmac_f32_e32 v57, 0xbeb58ec6, v64
	v_mul_f32_e32 v30, 0xbe750f2a, v26
	v_mul_f32_e32 v31, 0x3eedf032, v26
	v_sub_f32_e32 v64, v16, v10
	v_fma_f32 v25, 0xbf788fa5, v62, -v61
	v_add_f32_e32 v87, v57, v33
	v_mul_f32_e32 v33, 0xbf6f5d39, v26
	v_sub_f32_e32 v57, v21, v7
	s_delay_alu instid0(VALU_DEP_4) | instskip(SKIP_4) | instid1(VALU_DEP_4)
	v_dual_sub_f32 v65, v18, v8 :: v_dual_add_f32 v24, v25, v29
	v_fmamk_f32 v25, v27, 0xbf788fa5, v30
	v_fma_f32 v29, 0xbf788fa5, v27, -v30
	v_fma_f32 v30, 0x3f62ad3f, v62, -v28
	v_fmac_f32_e32 v61, 0xbf788fa5, v62
	v_dual_fmac_f32 v28, 0x3f62ad3f, v62 :: v_dual_add_f32 v25, v25, v36
	s_delay_alu instid0(VALU_DEP_4) | instskip(NEXT) | instid1(VALU_DEP_4)
	v_add_f32_e32 v68, v29, v32
	v_dual_add_f32 v69, v30, v44 :: v_dual_mul_f32 v32, 0xbf29c268, v26
	v_mul_f32_e32 v30, 0xbf29c268, v58
	s_delay_alu instid0(VALU_DEP_2) | instskip(NEXT) | instid1(VALU_DEP_1)
	v_dual_add_f32 v71, v28, v34 :: v_dual_fmamk_f32 v28, v27, 0xbf3f9e67, v32
	v_dual_fmamk_f32 v29, v27, 0x3f62ad3f, v31 :: v_dual_add_f32 v74, v28, v41
	s_delay_alu instid0(VALU_DEP_1) | instskip(SKIP_4) | instid1(VALU_DEP_3)
	v_add_f32_e32 v70, v29, v35
	v_fma_f32 v31, 0x3f62ad3f, v27, -v31
	v_fma_f32 v29, 0xbf3f9e67, v62, -v30
	v_add_f32_e32 v67, v61, v38
	v_dual_fmac_f32 v30, 0xbf3f9e67, v62 :: v_dual_sub_f32 v61, v2, v48
	v_dual_add_f32 v72, v31, v37 :: v_dual_add_f32 v73, v29, v51
	v_fma_f32 v29, 0xbf3f9e67, v27, -v32
	v_mul_f32_e32 v31, 0x3f52af12, v58
	s_delay_alu instid0(VALU_DEP_4)
	v_dual_mul_f32 v32, 0x3f52af12, v26 :: v_dual_add_f32 v75, v30, v53
	ds_store_2addr_b64 v217, v[46:47], v[24:25] offset1:1
	ds_store_2addr_b64 v217, v[69:70], v[73:74] offset0:2 offset1:3
	v_add_f32_e32 v76, v29, v40
	v_fma_f32 v28, 0x3f116cb1, v62, -v31
	v_fma_f32 v30, 0x3f116cb1, v27, -v32
	v_mul_u32_u24_e32 v24, 13, v137
	s_delay_alu instid0(VALU_DEP_3) | instskip(SKIP_1) | instid1(VALU_DEP_4)
	v_dual_add_f32 v77, v28, v43 :: v_dual_fmamk_f32 v28, v27, 0x3f116cb1, v32
	v_mul_f32_e32 v29, 0xbf6f5d39, v58
	v_add_f32_e32 v80, v30, v42
	v_mul_f32_e32 v30, 0x3f7e222b, v26
	v_fma_f32 v26, 0xbeb58ec6, v27, -v33
	v_add_f32_e32 v78, v28, v56
	v_fma_f32 v32, 0xbeb58ec6, v62, -v29
	v_dual_fmac_f32 v29, 0xbeb58ec6, v62 :: v_dual_sub_f32 v56, v13, v15
	s_delay_alu instid0(VALU_DEP_4) | instskip(SKIP_4) | instid1(VALU_DEP_3)
	v_add_f32_e32 v84, v26, v55
	v_fmamk_f32 v28, v27, 0xbeb58ec6, v33
	v_fmac_f32_e32 v31, 0x3f116cb1, v62
	v_add_f32_e32 v81, v32, v50
	v_dual_sub_f32 v55, v3, v49 :: v_dual_add_f32 v26, v48, v2
	v_dual_add_f32 v82, v28, v45 :: v_dual_add_f32 v79, v31, v39
	v_fmamk_f32 v31, v27, 0x3df6dbef, v30
	v_mul_f32_e32 v89, 0x3f7e222b, v58
	s_delay_alu instid0(VALU_DEP_4)
	v_mul_f32_e32 v38, 0xbeedf032, v55
	v_fma_f32 v90, 0x3df6dbef, v27, -v30
	v_sub_f32_e32 v58, v23, v5
	v_add_f32_e32 v86, v31, v60
	v_fma_f32 v28, 0x3df6dbef, v62, -v89
	v_fmac_f32_e32 v89, 0x3df6dbef, v62
	v_sub_f32_e32 v62, v20, v6
	v_mul_f32_e32 v50, 0xbeedf032, v61
	s_delay_alu instid0(VALU_DEP_4) | instskip(SKIP_3) | instid1(VALU_DEP_4)
	v_dual_fmamk_f32 v30, v26, 0x3f62ad3f, v38 :: v_dual_add_f32 v85, v28, v59
	v_dual_add_f32 v28, v7, v21 :: v_dual_add_f32 v83, v29, v54
	v_dual_add_f32 v29, v49, v3 :: v_dual_mul_f32 v40, 0xbf7e222b, v58
	v_add_f32_e32 v27, v6, v20
	v_dual_mul_f32 v39, 0xbf52af12, v57 :: v_dual_add_f32 v32, v30, v0
	s_delay_alu instid0(VALU_DEP_3) | instskip(SKIP_3) | instid1(VALU_DEP_4)
	v_fma_f32 v31, 0x3f62ad3f, v29, -v50
	v_add_f32_e32 v30, v4, v22
	v_dual_sub_f32 v60, v19, v9 :: v_dual_sub_f32 v59, v17, v11
	v_mul_f32_e32 v45, 0xbf6f5d39, v64
	v_add_f32_e32 v33, v31, v1
	v_mul_f32_e32 v53, 0xbf52af12, v62
	v_fmamk_f32 v31, v27, 0x3f116cb1, v39
	v_fmamk_f32 v36, v30, 0x3df6dbef, v40
	v_mul_f32_e32 v42, 0xbf29c268, v60
	v_mul_f32_e32 v41, 0xbf6f5d39, v59
	v_fma_f32 v34, 0x3f116cb1, v28, -v53
	v_add_f32_e32 v35, v31, v32
	v_dual_add_f32 v31, v5, v23 :: v_dual_add_f32 v32, v10, v16
	v_mul_f32_e32 v54, 0xbe750f2a, v66
	s_delay_alu instid0(VALU_DEP_4)
	v_add_f32_e32 v34, v34, v33
	v_sub_f32_e32 v63, v22, v4
	v_dual_add_f32 v35, v36, v35 :: v_dual_add_f32 v88, v90, v88
	v_add_f32_e32 v87, v89, v87
	scratch_store_b32 off, v24, off offset:96 ; 4-byte Folded Spill
	v_mul_f32_e32 v43, 0xbf7e222b, v63
	ds_store_2addr_b64 v217, v[77:78], v[81:82] offset0:4 offset1:5
	ds_store_2addr_b64 v217, v[85:86], v[87:88] offset0:6 offset1:7
	;; [unrolled: 1-line block ×4, first 2 shown]
	ds_store_b64 v217, v[67:68] offset:96
	v_fma_f32 v37, 0x3df6dbef, v31, -v43
	s_delay_alu instid0(VALU_DEP_1) | instskip(SKIP_1) | instid1(VALU_DEP_1)
	v_add_f32_e32 v36, v37, v34
	v_dual_add_f32 v34, v8, v18 :: v_dual_add_f32 v33, v11, v17
	v_fmamk_f32 v93, v34, 0xbf3f9e67, v42
	s_delay_alu instid0(VALU_DEP_2) | instskip(NEXT) | instid1(VALU_DEP_1)
	v_fma_f32 v44, 0xbeb58ec6, v33, -v45
	v_add_f32_e32 v92, v44, v36
	v_dual_fmamk_f32 v37, v32, 0xbeb58ec6, v41 :: v_dual_add_f32 v36, v14, v12
	s_delay_alu instid0(VALU_DEP_1) | instskip(SKIP_2) | instid1(VALU_DEP_3)
	v_dual_mul_f32 v44, 0xbe750f2a, v56 :: v_dual_add_f32 v91, v37, v35
	v_add_f32_e32 v35, v9, v19
	v_add_f32_e32 v37, v15, v13
	;; [unrolled: 1-line block ×3, first 2 shown]
	s_delay_alu instid0(VALU_DEP_4) | instskip(NEXT) | instid1(VALU_DEP_1)
	v_fmamk_f32 v93, v36, 0xbf788fa5, v44
	v_dual_mul_f32 v51, 0xbf29c268, v65 :: v_dual_add_f32 v124, v93, v91
	s_delay_alu instid0(VALU_DEP_1) | instskip(NEXT) | instid1(VALU_DEP_1)
	v_fma_f32 v94, 0xbf3f9e67, v35, -v51
	v_add_f32_e32 v92, v94, v92
	v_fma_f32 v94, 0xbf788fa5, v37, -v54
	s_delay_alu instid0(VALU_DEP_1)
	v_add_f32_e32 v125, v94, v92
	s_and_saveexec_b32 s0, vcc_lo
	s_cbranch_execz .LBB0_7
; %bb.6:
	v_mul_f32_e32 v73, 0x3eedf032, v62
	v_mul_f32_e32 v76, 0xbf29c268, v63
	v_dual_mul_f32 v80, 0x3f52af12, v64 :: v_dual_mul_f32 v91, 0x3f52af12, v59
	v_dual_mul_f32 v90, 0xbf29c268, v61 :: v_dual_mul_f32 v97, 0xbf29c268, v55
	s_delay_alu instid0(VALU_DEP_4) | instskip(SKIP_4) | instid1(VALU_DEP_4)
	v_fmamk_f32 v25, v28, 0x3f62ad3f, v73
	v_mul_f32_e32 v69, 0xbe750f2a, v61
	v_dual_fmamk_f32 v46, v31, 0xbf3f9e67, v76 :: v_dual_mul_f32 v81, 0xbf3f9e67, v34
	v_mul_f32_e32 v85, 0xbf788fa5, v36
	v_mul_f32_e32 v72, 0x3f116cb1, v27
	v_fmamk_f32 v24, v29, 0xbf788fa5, v69
	v_dual_mul_f32 v82, 0xbf3f9e67, v35 :: v_dual_fmamk_f32 v67, v29, 0xbf3f9e67, v90
	v_dual_mul_f32 v84, 0xbf6f5d39, v65 :: v_dual_mul_f32 v93, 0xbf6f5d39, v60
	s_delay_alu instid0(VALU_DEP_3) | instskip(SKIP_1) | instid1(VALU_DEP_4)
	v_add_f32_e32 v24, v24, v1
	v_mul_f32_e32 v92, 0x3f7e222b, v62
	v_dual_mul_f32 v88, 0xbf29c268, v58 :: v_dual_add_f32 v67, v67, v1
	s_delay_alu instid0(VALU_DEP_4) | instskip(NEXT) | instid1(VALU_DEP_4)
	v_fma_f32 v95, 0xbeb58ec6, v34, -v93
	v_dual_add_f32 v24, v25, v24 :: v_dual_mul_f32 v75, 0x3df6dbef, v30
	v_fmamk_f32 v25, v33, 0x3f116cb1, v80
	v_fmamk_f32 v68, v28, 0x3df6dbef, v92
	v_dual_mul_f32 v94, 0xbf52af12, v63 :: v_dual_mul_f32 v101, 0xbf52af12, v58
	s_delay_alu instid0(VALU_DEP_4) | instskip(SKIP_3) | instid1(VALU_DEP_4)
	v_dual_add_f32 v24, v46, v24 :: v_dual_mul_f32 v77, 0x3df6dbef, v31
	v_mul_f32_e32 v98, 0x3eedf032, v65
	v_mul_f32_e32 v128, 0xbe750f2a, v57
	;; [unrolled: 1-line block ×3, first 2 shown]
	v_dual_add_f32 v24, v25, v24 :: v_dual_fmamk_f32 v25, v35, 0xbeb58ec6, v84
	v_mul_f32_e32 v83, 0xbe750f2a, v55
	v_fmamk_f32 v100, v35, 0x3f62ad3f, v98
	v_mul_f32_e32 v96, 0x3e750f2a, v64
	v_mul_f32_e32 v122, 0x3f6f5d39, v63
	v_add_f32_e32 v24, v25, v24
	v_fma_f32 v46, 0xbf788fa5, v26, -v83
	v_mul_f32_e32 v86, 0x3eedf032, v57
	v_mul_f32_e32 v63, 0xbe750f2a, v63
	v_fma_f32 v131, 0xbf788fa5, v27, -v128
	v_mul_f32_e32 v116, 0xbf7e222b, v61
	v_add_f32_e32 v46, v46, v0
	v_fma_f32 v47, 0x3f62ad3f, v27, -v86
	v_mul_f32_e32 v74, 0x3f116cb1, v28
	v_mul_f32_e32 v102, 0xbf6f5d39, v61
	v_fmamk_f32 v118, v29, 0x3df6dbef, v116
	v_mul_f32_e32 v119, 0xbe750f2a, v62
	v_add_f32_e32 v25, v47, v46
	v_fma_f32 v46, 0xbf3f9e67, v30, -v88
	v_fmamk_f32 v104, v29, 0xbeb58ec6, v102
	v_dual_mul_f32 v105, 0x3f29c268, v62 :: v_dual_add_f32 v118, v118, v1
	v_fmamk_f32 v121, v28, 0xbf788fa5, v119
	s_delay_alu instid0(VALU_DEP_4)
	v_add_f32_e32 v25, v46, v25
	v_fma_f32 v46, 0x3f116cb1, v32, -v91
	v_mul_f32_e32 v89, 0x3f7e222b, v66
	v_mul_f32_e32 v106, 0x3eedf032, v60
	v_add_f32_e32 v104, v104, v1
	v_mul_f32_e32 v110, 0xbf6f5d39, v55
	v_add_f32_e32 v46, v46, v25
	v_mul_f32_e32 v87, 0xbf788fa5, v37
	v_mul_f32_e32 v115, 0x3f52af12, v66
	;; [unrolled: 1-line block ×3, first 2 shown]
	v_fma_f32 v112, 0xbeb58ec6, v26, -v110
	v_dual_add_f32 v46, v95, v46 :: v_dual_fmamk_f32 v47, v37, 0x3df6dbef, v89
	v_mul_f32_e32 v95, 0x3f7e222b, v56
	s_delay_alu instid0(VALU_DEP_4)
	v_fma_f32 v123, 0xbf788fa5, v34, -v120
	v_mul_f32_e32 v126, 0xbf52af12, v65
	v_mul_f32_e32 v133, 0xbf6f5d39, v62
	v_dual_add_f32 v25, v47, v24 :: v_dual_add_f32 v24, v68, v67
	v_fma_f32 v68, 0xbf3f9e67, v26, -v97
	v_fmamk_f32 v47, v31, 0x3f116cb1, v94
	v_fma_f32 v67, 0x3df6dbef, v36, -v95
	v_fmamk_f32 v130, v35, 0x3f116cb1, v126
	v_mul_f32_e32 v109, 0xbf6f5d39, v56
	v_mul_f32_e32 v114, 0x3eedf032, v58
	v_dual_add_f32 v24, v47, v24 :: v_dual_fmamk_f32 v47, v33, 0xbf788fa5, v96
	v_dual_mul_f32 v70, 0x3f62ad3f, v26 :: v_dual_mul_f32 v71, 0x3f62ad3f, v29
	s_delay_alu instid0(VALU_DEP_4) | instskip(SKIP_1) | instid1(VALU_DEP_4)
	v_fma_f32 v111, 0xbeb58ec6, v36, -v109
	v_dual_mul_f32 v78, 0xbeb58ec6, v32 :: v_dual_mul_f32 v79, 0xbeb58ec6, v33
	v_add_f32_e32 v47, v47, v24
	v_add_f32_e32 v24, v67, v46
	v_dual_add_f32 v46, v68, v0 :: v_dual_mul_f32 v99, 0x3f7e222b, v57
	v_fmac_f32_e32 v128, 0xbf788fa5, v27
	s_delay_alu instid0(VALU_DEP_4) | instskip(SKIP_1) | instid1(VALU_DEP_4)
	v_dual_add_f32 v47, v100, v47 :: v_dual_mul_f32 v100, 0xbf6f5d39, v66
	v_fmamk_f32 v117, v37, 0x3f116cb1, v115
	v_fma_f32 v67, 0x3df6dbef, v27, -v99
	v_mul_f32_e32 v113, 0x3f29c268, v57
	v_fmamk_f32 v134, v28, 0xbeb58ec6, v133
	v_fmamk_f32 v68, v37, 0xbeb58ec6, v100
	v_add_f32_e32 v50, v50, v71
	v_add_f32_e32 v46, v67, v46
	v_fma_f32 v67, 0x3f116cb1, v30, -v101
	v_dual_mul_f32 v103, 0x3e750f2a, v59 :: v_dual_add_f32 v2, v2, v0
	s_delay_alu instid0(VALU_DEP_4) | instskip(SKIP_1) | instid1(VALU_DEP_4)
	v_add_f32_e32 v50, v50, v1
	v_sub_f32_e32 v38, v70, v38
	v_add_f32_e32 v46, v67, v46
	s_delay_alu instid0(VALU_DEP_4)
	v_fma_f32 v67, 0xbf788fa5, v32, -v103
	v_fmamk_f32 v107, v28, 0xbf3f9e67, v105
	v_add_f32_e32 v53, v53, v74
	v_add_f32_e32 v2, v20, v2
	v_fmac_f32_e32 v86, 0x3f62ad3f, v27
	v_add_f32_e32 v46, v67, v46
	v_fma_f32 v67, 0x3f62ad3f, v34, -v106
	v_add_f32_e32 v50, v53, v50
	v_add_f32_e32 v2, v22, v2
	v_dual_add_f32 v22, v45, v79 :: v_dual_fmac_f32 v83, 0xbf788fa5, v26
	s_delay_alu instid0(VALU_DEP_4) | instskip(SKIP_1) | instid1(VALU_DEP_4)
	v_add_f32_e32 v46, v67, v46
	v_fmac_f32_e32 v88, 0xbf3f9e67, v30
	v_dual_add_f32 v2, v16, v2 :: v_dual_add_f32 v43, v43, v77
	s_delay_alu instid0(VALU_DEP_3)
	v_dual_fmac_f32 v99, 0x3df6dbef, v27 :: v_dual_add_f32 v46, v111, v46
	v_add_f32_e32 v111, v112, v0
	v_dual_add_f32 v47, v68, v47 :: v_dual_add_f32 v68, v107, v104
	v_fmamk_f32 v104, v31, 0x3f62ad3f, v108
	v_fma_f32 v112, 0xbf3f9e67, v27, -v113
	v_dual_mul_f32 v107, 0xbf7e222b, v64 :: v_dual_add_f32 v2, v18, v2
	v_add_f32_e32 v43, v43, v50
	s_delay_alu instid0(VALU_DEP_4) | instskip(NEXT) | instid1(VALU_DEP_3)
	v_dual_add_f32 v67, v104, v68 :: v_dual_mul_f32 v104, 0x3e750f2a, v65
	v_fmamk_f32 v68, v33, 0x3df6dbef, v107
	v_mul_f32_e32 v65, 0x3f7e222b, v65
	s_delay_alu instid0(VALU_DEP_4) | instskip(NEXT) | instid1(VALU_DEP_3)
	v_dual_add_f32 v3, v3, v1 :: v_dual_add_f32 v16, v22, v43
	v_dual_add_f32 v22, v38, v0 :: v_dual_add_f32 v67, v68, v67
	v_fmamk_f32 v68, v35, 0xbf788fa5, v104
	v_sub_f32_e32 v18, v72, v39
	v_add_f32_e32 v2, v12, v2
	v_fmac_f32_e32 v101, 0x3f116cb1, v30
	v_fmac_f32_e32 v103, 0xbf788fa5, v32
	v_add_f32_e32 v67, v68, v67
	v_add_f32_e32 v68, v112, v111
	v_fma_f32 v111, 0x3f62ad3f, v30, -v114
	v_mul_f32_e32 v112, 0xbf7e222b, v59
	v_add_f32_e32 v12, v18, v22
	v_add_f32_e32 v2, v14, v2
	v_fma_f32 v14, 0xbf788fa5, v29, -v69
	v_add_f32_e32 v68, v111, v68
	v_fma_f32 v111, 0x3df6dbef, v32, -v112
	s_delay_alu instid0(VALU_DEP_4) | instskip(NEXT) | instid1(VALU_DEP_4)
	v_dual_fmac_f32 v91, 0x3f116cb1, v32 :: v_dual_add_f32 v2, v8, v2
	v_add_f32_e32 v8, v14, v1
	v_fma_f32 v14, 0xbf788fa5, v28, -v119
	s_delay_alu instid0(VALU_DEP_4) | instskip(SKIP_2) | instid1(VALU_DEP_3)
	v_dual_add_f32 v111, v111, v68 :: v_dual_add_f32 v68, v117, v67
	v_add_f32_e32 v67, v121, v118
	v_fmamk_f32 v117, v31, 0xbeb58ec6, v122
	v_dual_mul_f32 v118, 0x3eedf032, v64 :: v_dual_add_f32 v111, v123, v111
	v_mul_f32_e32 v121, 0xbf7e222b, v55
	v_mul_f32_e32 v123, 0x3f52af12, v56
	s_delay_alu instid0(VALU_DEP_4) | instskip(NEXT) | instid1(VALU_DEP_4)
	v_add_f32_e32 v67, v117, v67
	v_fmamk_f32 v117, v33, 0x3f62ad3f, v118
	v_mul_f32_e32 v55, 0xbf52af12, v55
	v_fma_f32 v127, 0x3df6dbef, v26, -v121
	v_fma_f32 v129, 0x3f116cb1, v36, -v123
	s_delay_alu instid0(VALU_DEP_4) | instskip(SKIP_1) | instid1(VALU_DEP_4)
	v_dual_add_f32 v2, v10, v2 :: v_dual_add_f32 v117, v117, v67
	v_fmac_f32_e32 v113, 0xbf3f9e67, v27
	v_add_f32_e32 v127, v127, v0
	s_delay_alu instid0(VALU_DEP_4)
	v_add_f32_e32 v67, v129, v111
	v_mul_f32_e32 v129, 0x3eedf032, v59
	v_add_f32_e32 v111, v130, v117
	v_mul_f32_e32 v117, 0xbf52af12, v61
	;; [unrolled: 2-line block ×3, first 2 shown]
	v_fma_f32 v62, 0x3f62ad3f, v32, -v129
	s_delay_alu instid0(VALU_DEP_4) | instskip(SKIP_3) | instid1(VALU_DEP_4)
	v_dual_add_f32 v4, v4, v2 :: v_dual_fmamk_f32 v131, v29, 0x3f116cb1, v117
	v_fmac_f32_e32 v95, 0x3df6dbef, v36
	v_fmac_f32_e32 v114, 0x3f62ad3f, v30
	;; [unrolled: 1-line block ×3, first 2 shown]
	v_dual_add_f32 v4, v6, v4 :: v_dual_add_f32 v131, v131, v1
	v_mul_f32_e32 v132, 0x3f6f5d39, v58
	v_mul_f32_e32 v58, 0xbe750f2a, v58
	s_delay_alu instid0(VALU_DEP_3) | instskip(NEXT) | instid1(VALU_DEP_4)
	v_dual_fmac_f32 v121, 0x3df6dbef, v26 :: v_dual_add_f32 v4, v48, v4
	v_add_f32_e32 v131, v134, v131
	s_delay_alu instid0(VALU_DEP_4) | instskip(SKIP_3) | instid1(VALU_DEP_4)
	v_fma_f32 v127, 0xbeb58ec6, v30, -v132
	v_fmamk_f32 v134, v31, 0xbf788fa5, v63
	v_mul_f32_e32 v130, 0xbf29c268, v66
	v_fmac_f32_e32 v129, 0x3f62ad3f, v32
	v_add_f32_e32 v61, v127, v61
	v_mul_f32_e32 v127, 0xbf52af12, v60
	s_delay_alu instid0(VALU_DEP_4) | instskip(SKIP_1) | instid1(VALU_DEP_4)
	v_fmamk_f32 v135, v37, 0xbf3f9e67, v130
	v_mul_f32_e32 v60, 0x3f7e222b, v60
	v_dual_fmac_f32 v112, 0x3df6dbef, v32 :: v_dual_add_f32 v61, v62, v61
	s_delay_alu instid0(VALU_DEP_4) | instskip(NEXT) | instid1(VALU_DEP_4)
	v_fma_f32 v138, 0x3f116cb1, v34, -v127
	v_add_f32_e32 v62, v135, v111
	v_dual_add_f32 v111, v134, v131 :: v_dual_mul_f32 v64, 0x3f29c268, v64
	v_fma_f32 v134, 0x3f116cb1, v26, -v55
	v_mul_f32_e32 v135, 0xbf6f5d39, v57
	v_fma_f32 v74, 0x3df6dbef, v34, -v60
	v_add_f32_e32 v61, v138, v61
	v_fmamk_f32 v131, v33, 0xbf3f9e67, v64
	v_fmac_f32_e32 v60, 0x3df6dbef, v34
	v_fmac_f32_e32 v132, 0xbeb58ec6, v30
	;; [unrolled: 1-line block ×4, first 2 shown]
	v_add_f32_e32 v57, v131, v111
	v_fmamk_f32 v111, v35, 0x3df6dbef, v65
	v_add_f32_e32 v131, v134, v0
	v_fma_f32 v134, 0xbeb58ec6, v27, -v135
	v_mul_f32_e32 v138, 0xbf29c268, v56
	s_delay_alu instid0(VALU_DEP_4) | instskip(SKIP_1) | instid1(VALU_DEP_4)
	v_dual_mul_f32 v66, 0x3eedf032, v66 :: v_dual_add_f32 v57, v111, v57
	v_fmac_f32_e32 v135, 0xbeb58ec6, v27
	v_add_f32_e32 v111, v134, v131
	v_fma_f32 v131, 0xbf788fa5, v30, -v58
	v_fma_f32 v139, 0xbf3f9e67, v36, -v138
	v_fmamk_f32 v134, v37, 0x3f62ad3f, v66
	v_fmac_f32_e32 v138, 0xbf3f9e67, v36
	v_fmac_f32_e32 v127, 0x3f116cb1, v34
	v_add_f32_e32 v71, v131, v111
	v_fma_f32 v111, 0xbf3f9e67, v32, -v59
	v_add_f32_e32 v61, v139, v61
	v_add_f32_e32 v57, v134, v57
	v_fmac_f32_e32 v59, 0xbf3f9e67, v32
	s_delay_alu instid0(VALU_DEP_4) | instskip(NEXT) | instid1(VALU_DEP_1)
	v_add_f32_e32 v71, v111, v71
	v_add_f32_e32 v20, v74, v71
	;; [unrolled: 1-line block ×3, first 2 shown]
	v_mul_f32_e32 v21, 0x3eedf032, v56
	s_delay_alu instid0(VALU_DEP_2) | instskip(NEXT) | instid1(VALU_DEP_2)
	v_add_f32_e32 v3, v23, v3
	v_fma_f32 v23, 0x3f62ad3f, v36, -v21
	s_delay_alu instid0(VALU_DEP_1) | instskip(NEXT) | instid1(VALU_DEP_1)
	v_dual_add_f32 v3, v17, v3 :: v_dual_add_f32 v56, v23, v20
	v_add_f32_e32 v3, v19, v3
	s_delay_alu instid0(VALU_DEP_1) | instskip(SKIP_2) | instid1(VALU_DEP_2)
	v_add_f32_e32 v3, v13, v3
	v_sub_f32_e32 v13, v75, v40
	v_add_f32_e32 v17, v51, v82
	v_dual_add_f32 v3, v15, v3 :: v_dual_add_f32 v12, v13, v12
	s_delay_alu instid0(VALU_DEP_2) | instskip(SKIP_2) | instid1(VALU_DEP_3)
	v_dual_sub_f32 v13, v78, v41 :: v_dual_add_f32 v16, v17, v16
	v_add_f32_e32 v17, v54, v87
	v_add_f32_e32 v15, v121, v0
	;; [unrolled: 1-line block ×3, first 2 shown]
	v_sub_f32_e32 v13, v81, v42
	s_delay_alu instid0(VALU_DEP_1) | instskip(SKIP_3) | instid1(VALU_DEP_4)
	v_dual_add_f32 v15, v128, v15 :: v_dual_add_f32 v10, v13, v12
	v_add_f32_e32 v3, v9, v3
	v_fma_f32 v9, 0x3f62ad3f, v28, -v73
	v_fma_f32 v13, 0x3df6dbef, v29, -v116
	v_dual_fmac_f32 v106, 0x3f62ad3f, v34 :: v_dual_add_f32 v15, v132, v15
	v_fmac_f32_e32 v120, 0xbf788fa5, v34
	s_delay_alu instid0(VALU_DEP_4) | instskip(SKIP_4) | instid1(VALU_DEP_4)
	v_add_f32_e32 v8, v9, v8
	v_fma_f32 v9, 0xbf3f9e67, v31, -v76
	v_add_f32_e32 v3, v11, v3
	v_add_f32_e32 v13, v13, v1
	;; [unrolled: 1-line block ×4, first 2 shown]
	s_delay_alu instid0(VALU_DEP_4) | instskip(SKIP_4) | instid1(VALU_DEP_4)
	v_add_f32_e32 v5, v5, v3
	v_fma_f32 v9, 0x3f116cb1, v33, -v80
	v_add_f32_e32 v3, v17, v16
	v_add_f32_e32 v13, v14, v13
	v_fma_f32 v14, 0xbeb58ec6, v31, -v122
	v_dual_add_f32 v5, v7, v5 :: v_dual_add_f32 v6, v9, v8
	v_fma_f32 v7, 0xbeb58ec6, v35, -v84
	v_sub_f32_e32 v11, v85, v44
	v_fma_f32 v8, 0xbf3f9e67, v29, -v90
	v_add_f32_e32 v9, v83, v0
	s_delay_alu instid0(VALU_DEP_4) | instskip(NEXT) | instid1(VALU_DEP_4)
	v_dual_add_f32 v5, v49, v5 :: v_dual_add_f32 v6, v7, v6
	v_add_f32_e32 v2, v11, v10
	v_fma_f32 v7, 0x3df6dbef, v37, -v89
	v_add_f32_e32 v8, v8, v1
	v_fma_f32 v10, 0x3df6dbef, v28, -v92
	v_fmac_f32_e32 v97, 0xbf3f9e67, v26
	v_fma_f32 v11, 0xbeb58ec6, v29, -v102
	v_dual_add_f32 v7, v7, v6 :: v_dual_add_f32 v6, v86, v9
	s_delay_alu instid0(VALU_DEP_4) | instskip(SKIP_2) | instid1(VALU_DEP_4)
	v_add_f32_e32 v8, v10, v8
	v_fma_f32 v9, 0x3f116cb1, v31, -v94
	v_dual_add_f32 v10, v97, v0 :: v_dual_add_f32 v13, v14, v13
	v_add_f32_e32 v6, v88, v6
	v_fma_f32 v14, 0x3f62ad3f, v33, -v118
	s_delay_alu instid0(VALU_DEP_4)
	v_add_f32_e32 v8, v9, v8
	v_fma_f32 v9, 0xbf788fa5, v33, -v96
	v_add_f32_e32 v10, v99, v10
	v_fmac_f32_e32 v93, 0xbeb58ec6, v34
	v_add_f32_e32 v6, v91, v6
	v_dual_fmac_f32 v110, 0xbeb58ec6, v26 :: v_dual_add_f32 v13, v14, v13
	v_add_f32_e32 v8, v9, v8
	v_fma_f32 v9, 0x3f62ad3f, v35, -v98
	v_add_f32_e32 v10, v101, v10
	v_add_f32_e32 v6, v93, v6
	v_fma_f32 v14, 0x3f116cb1, v35, -v126
	v_fma_f32 v16, 0x3f62ad3f, v37, -v66
	v_add_f32_e32 v8, v9, v8
	v_fma_f32 v9, 0xbeb58ec6, v37, -v100
	v_add_f32_e32 v10, v103, v10
	v_add_f32_e32 v6, v95, v6
	;; [unrolled: 1-line block ×3, first 2 shown]
	v_fmac_f32_e32 v21, 0x3f62ad3f, v36
	s_delay_alu instid0(VALU_DEP_4) | instskip(SKIP_2) | instid1(VALU_DEP_3)
	v_dual_add_f32 v9, v9, v8 :: v_dual_add_f32 v8, v106, v10
	v_add_f32_e32 v10, v11, v1
	v_fma_f32 v11, 0xbf3f9e67, v28, -v105
	v_add_f32_e32 v8, v109, v8
	s_delay_alu instid0(VALU_DEP_2) | instskip(SKIP_1) | instid1(VALU_DEP_1)
	v_add_f32_e32 v10, v11, v10
	v_fma_f32 v11, 0x3f62ad3f, v31, -v108
	v_add_f32_e32 v10, v11, v10
	v_fma_f32 v11, 0x3df6dbef, v33, -v107
	s_delay_alu instid0(VALU_DEP_1) | instskip(SKIP_1) | instid1(VALU_DEP_1)
	v_add_f32_e32 v10, v11, v10
	v_fma_f32 v11, 0xbf788fa5, v35, -v104
	v_add_f32_e32 v10, v11, v10
	v_fma_f32 v11, 0x3f116cb1, v37, -v115
	s_delay_alu instid0(VALU_DEP_1) | instskip(NEXT) | instid1(VALU_DEP_1)
	v_dual_add_f32 v12, v110, v0 :: v_dual_add_f32 v11, v11, v10
	v_add_f32_e32 v12, v113, v12
	s_delay_alu instid0(VALU_DEP_1) | instskip(NEXT) | instid1(VALU_DEP_1)
	v_add_f32_e32 v12, v114, v12
	v_add_f32_e32 v12, v112, v12
	s_delay_alu instid0(VALU_DEP_1) | instskip(NEXT) | instid1(VALU_DEP_1)
	v_add_f32_e32 v12, v120, v12
	v_add_f32_e32 v10, v123, v12
	;; [unrolled: 1-line block ×3, first 2 shown]
	v_fma_f32 v13, 0x3f116cb1, v29, -v117
	v_fma_f32 v14, 0xbf3f9e67, v37, -v130
	s_delay_alu instid0(VALU_DEP_2) | instskip(SKIP_1) | instid1(VALU_DEP_1)
	v_dual_fmac_f32 v58, 0xbf788fa5, v30 :: v_dual_add_f32 v1, v13, v1
	v_fma_f32 v13, 0xbeb58ec6, v28, -v133
	v_add_f32_e32 v1, v13, v1
	v_fma_f32 v13, 0xbf788fa5, v31, -v63
	s_delay_alu instid0(VALU_DEP_1) | instskip(SKIP_1) | instid1(VALU_DEP_1)
	v_add_f32_e32 v1, v13, v1
	v_fma_f32 v13, 0xbf3f9e67, v33, -v64
	v_add_f32_e32 v1, v13, v1
	v_fma_f32 v13, 0x3df6dbef, v35, -v65
	s_delay_alu instid0(VALU_DEP_1) | instskip(SKIP_1) | instid1(VALU_DEP_2)
	v_add_f32_e32 v13, v13, v1
	v_add_f32_e32 v1, v14, v12
	v_dual_add_f32 v0, v55, v0 :: v_dual_add_f32 v13, v16, v13
	s_delay_alu instid0(VALU_DEP_1) | instskip(NEXT) | instid1(VALU_DEP_1)
	v_add_f32_e32 v0, v135, v0
	v_add_f32_e32 v0, v58, v0
	s_delay_alu instid0(VALU_DEP_1) | instskip(NEXT) | instid1(VALU_DEP_1)
	v_add_f32_e32 v0, v59, v0
	v_add_f32_e32 v17, v60, v0
	v_mul_u32_u24_e32 v0, 13, v137
	s_delay_alu instid0(VALU_DEP_1) | instskip(SKIP_1) | instid1(VALU_DEP_4)
	v_lshl_add_u32 v18, v0, 3, v204
	v_add_f32_e32 v0, v138, v15
	v_add_f32_e32 v12, v21, v17
	ds_store_2addr_b64 v18, v[4:5], v[2:3] offset1:1
	ds_store_2addr_b64 v18, v[56:57], v[61:62] offset0:2 offset1:3
	ds_store_2addr_b64 v18, v[67:68], v[46:47] offset0:4 offset1:5
	;; [unrolled: 1-line block ×5, first 2 shown]
	ds_store_b64 v18, v[124:125] offset:96
.LBB0_7:
	s_wait_alu 0xfffe
	s_or_b32 exec_lo, exec_lo, s0
	v_and_b32_e32 v0, 0xff, v187
	v_and_b32_e32 v1, 0xff, v137
	v_add_co_u32 v130, s0, 0x4e, v187
	global_wb scope:SCOPE_SE
	s_wait_storecnt_dscnt 0x0
	v_mul_lo_u16 v0, 0x4f, v0
	v_mul_lo_u16 v1, 0x4f, v1
	s_barrier_signal -1
	s_barrier_wait -1
	global_inv scope:SCOPE_SE
	v_lshrrev_b16 v60, 10, v0
	v_lshrrev_b16 v57, 10, v1
	s_wait_alu 0xf1ff
	v_add_co_ci_u32_e64 v131, null, 0, 0, s0
	v_add_co_u32 v126, s0, 0x75, v187
	v_mul_lo_u16 v0, v60, 13
	v_mul_lo_u16 v1, v57, 13
	s_wait_alu 0xf1ff
	v_add_co_ci_u32_e64 v127, null, 0, 0, s0
	v_add_co_u32 v128, s0, 0x9c, v187
	v_sub_nc_u16 v0, v187, v0
	v_sub_nc_u16 v1, v137, v1
	v_and_b32_e32 v57, 0xffff, v57
	s_wait_alu 0xf1ff
	v_add_co_ci_u32_e64 v129, null, 0, 0, s0
	v_and_b32_e32 v61, 0xff, v0
	v_and_b32_e32 v59, 0xff, v1
	v_cmp_gt_u16_e64 s0, 13, v187
	v_and_b32_e32 v60, 0xffff, v60
	s_delay_alu instid0(VALU_DEP_4)
	v_lshlrev_b32_e32 v1, 5, v61
	s_clause 0x1
	global_load_b128 v[12:15], v1, s[8:9] offset:16
	global_load_b128 v[28:31], v1, s[8:9]
	v_and_b32_e32 v0, 0xff, v130
	v_and_b32_e32 v53, 0xff, v126
	;; [unrolled: 1-line block ×3, first 2 shown]
	v_lshlrev_b32_e32 v2, 5, v59
	s_clause 0x1
	global_load_b128 v[20:23], v2, s[8:9] offset:16
	global_load_b128 v[32:35], v2, s[8:9]
	v_mul_lo_u16 v0, 0x4f, v0
	v_add_nc_u32_e32 v138, 0x400, v203
	s_delay_alu instid0(VALU_DEP_2) | instskip(SKIP_1) | instid1(VALU_DEP_2)
	v_lshrrev_b16 v64, 10, v0
	v_mul_lo_u16 v0, 0x4f, v53
	v_mul_lo_u16 v1, v64, 13
	s_delay_alu instid0(VALU_DEP_2) | instskip(NEXT) | instid1(VALU_DEP_2)
	v_lshrrev_b16 v67, 10, v0
	v_sub_nc_u16 v0, v130, v1
	v_mul_lo_u16 v1, 0x4f, v56
	s_delay_alu instid0(VALU_DEP_3) | instskip(NEXT) | instid1(VALU_DEP_3)
	v_mul_lo_u16 v2, v67, 13
	v_and_b32_e32 v62, 0xff, v0
	s_delay_alu instid0(VALU_DEP_3) | instskip(NEXT) | instid1(VALU_DEP_3)
	v_lshrrev_b16 v66, 10, v1
	v_sub_nc_u16 v0, v126, v2
	s_delay_alu instid0(VALU_DEP_3) | instskip(NEXT) | instid1(VALU_DEP_3)
	v_lshlrev_b32_e32 v1, 5, v62
	v_mul_lo_u16 v2, v66, 13
	s_delay_alu instid0(VALU_DEP_3)
	v_and_b32_e32 v63, 0xff, v0
	s_clause 0x1
	global_load_b128 v[40:43], v1, s[8:9]
	global_load_b128 v[36:39], v1, s[8:9] offset:16
	v_sub_nc_u16 v0, v128, v2
	v_lshlrev_b32_e32 v2, 5, v63
	v_add_nc_u32_e32 v55, 0x1000, v203
	s_delay_alu instid0(VALU_DEP_3)
	v_and_b32_e32 v65, 0xff, v0
	global_load_b128 v[24:27], v2, s[8:9]
	v_lshlrev_b32_e32 v0, 5, v65
	s_clause 0x2
	global_load_b128 v[16:19], v2, s[8:9] offset:16
	global_load_b128 v[8:11], v0, s[8:9]
	global_load_b128 v[4:7], v0, s[8:9] offset:16
	ds_load_2addr_b64 v[0:3], v203 offset0:156 offset1:195
	s_wait_loadcnt_dscnt 0x800
	v_dual_mul_f32 v107, v2, v29 :: v_dual_add_nc_u32 v58, 0x800, v203
	v_mul_f32_e32 v72, v3, v29
	s_delay_alu instid0(VALU_DEP_2)
	v_fmac_f32_e32 v107, v3, v28
	ds_load_2addr_b64 v[68:71], v58 offset0:134 offset1:173
	v_fma_f32 v122, v2, v28, -v72
	s_wait_dscnt 0x0
	v_mul_f32_e32 v109, v68, v31
	v_add_nc_u32_e32 v54, 0x1800, v203
	v_mul_f32_e32 v108, v69, v31
	s_wait_loadcnt 0x6
	v_mul_f32_e32 v116, v71, v35
	v_mul_f32_e32 v117, v70, v35
	v_fmac_f32_e32 v109, v69, v30
	ds_load_2addr_b64 v[73:76], v55 offset0:34 offset1:73
	ds_load_2addr_b64 v[77:80], v54 offset0:12 offset1:51
	;; [unrolled: 1-line block ×4, first 2 shown]
	ds_load_2addr_b64 v[48:51], v203 offset1:39
	ds_load_2addr_b64 v[44:47], v203 offset0:78 offset1:117
	ds_load_b64 v[105:106], v203 offset:7488
	ds_load_2addr_b64 v[89:92], v58 offset0:212 offset1:251
	ds_load_2addr_b64 v[93:96], v54 offset0:90 offset1:129
	ds_load_2addr_b64 v[97:100], v58 offset0:56 offset1:95
	ds_load_2addr_b64 v[101:104], v55 offset0:190 offset1:229
	v_fma_f32 v108, v68, v30, -v108
	global_wb scope:SCOPE_SE
	s_wait_loadcnt_dscnt 0x0
	v_fmac_f32_e32 v117, v71, v34
	s_barrier_signal -1
	s_barrier_wait -1
	global_inv scope:SCOPE_SE
	v_mul_f32_e32 v110, v76, v13
	v_dual_mul_f32 v111, v75, v13 :: v_dual_mul_f32 v112, v78, v15
	v_dual_mul_f32 v113, v77, v15 :: v_dual_mul_f32 v114, v82, v33
	v_mul_f32_e32 v115, v81, v33
	v_mul_f32_e32 v118, v86, v21
	v_dual_mul_f32 v119, v85, v21 :: v_dual_mul_f32 v120, v80, v23
	v_dual_mul_f32 v121, v79, v23 :: v_dual_mul_f32 v72, v88, v37
	v_fma_f32 v110, v75, v12, -v110
	v_fmac_f32_e32 v111, v76, v12
	v_fma_f32 v112, v77, v14, -v112
	v_dual_fmac_f32 v113, v78, v14 :: v_dual_mul_f32 v78, v83, v41
	v_fma_f32 v75, v81, v32, -v114
	v_fmac_f32_e32 v115, v82, v32
	v_fma_f32 v76, v70, v34, -v116
	v_mul_f32_e32 v116, v89, v43
	v_fma_f32 v82, v85, v20, -v118
	v_dual_fmac_f32 v119, v86, v20 :: v_dual_mul_f32 v118, v87, v37
	v_fma_f32 v114, v79, v22, -v120
	v_dual_fmac_f32 v121, v80, v22 :: v_dual_mul_f32 v80, v97, v25
	v_dual_mul_f32 v70, v84, v41 :: v_dual_mul_f32 v71, v90, v43
	v_dual_mul_f32 v132, v100, v9 :: v_dual_mul_f32 v77, v94, v39
	v_mul_f32_e32 v2, v99, v9
	v_dual_mul_f32 v120, v93, v39 :: v_dual_mul_f32 v79, v98, v25
	v_mul_f32_e32 v86, v96, v19
	v_dual_mul_f32 v81, v92, v27 :: v_dual_mul_f32 v68, v103, v5
	v_dual_mul_f32 v123, v91, v27 :: v_dual_fmac_f32 v78, v84, v40
	v_dual_mul_f32 v85, v102, v17 :: v_dual_mul_f32 v134, v95, v19
	v_dual_mul_f32 v133, v101, v17 :: v_dual_mul_f32 v140, v106, v7
	v_dual_mul_f32 v135, v74, v11 :: v_dual_fmac_f32 v118, v88, v36
	v_dual_mul_f32 v3, v73, v11 :: v_dual_fmac_f32 v116, v90, v42
	;; [unrolled: 1-line block ×4, first 2 shown]
	v_fma_f32 v83, v83, v40, -v70
	v_fma_f32 v89, v89, v42, -v71
	;; [unrolled: 1-line block ×6, first 2 shown]
	v_dual_fmac_f32 v123, v92, v26 :: v_dual_sub_f32 v92, v109, v111
	v_fma_f32 v98, v101, v16, -v85
	v_dual_fmac_f32 v133, v102, v16 :: v_dual_fmac_f32 v134, v96, v18
	v_fma_f32 v144, v95, v18, -v86
	v_fma_f32 v72, v99, v8, -v132
	v_dual_fmac_f32 v2, v100, v8 :: v_dual_fmac_f32 v3, v74, v10
	v_fma_f32 v70, v73, v10, -v135
	;; [unrolled: 3-line block ×3, first 2 shown]
	v_dual_add_f32 v74, v48, v122 :: v_dual_sub_f32 v91, v107, v113
	v_dual_add_f32 v77, v108, v110 :: v_dual_add_f32 v90, v49, v107
	v_dual_sub_f32 v81, v122, v108 :: v_dual_sub_f32 v84, v112, v110
	v_dual_add_f32 v85, v122, v112 :: v_dual_sub_f32 v86, v108, v122
	v_dual_sub_f32 v87, v110, v112 :: v_dual_sub_f32 v96, v107, v109
	v_dual_add_f32 v93, v109, v111 :: v_dual_sub_f32 v94, v122, v112
	v_dual_sub_f32 v95, v108, v110 :: v_dual_sub_f32 v100, v109, v107
	v_dual_sub_f32 v97, v113, v111 :: v_dual_sub_f32 v104, v115, v121
	v_dual_add_f32 v99, v107, v113 :: v_dual_add_f32 v102, v50, v75
	v_dual_sub_f32 v101, v111, v113 :: v_dual_sub_f32 v132, v76, v75
	v_dual_add_f32 v103, v76, v82 :: v_dual_sub_f32 v106, v75, v76
	v_dual_sub_f32 v107, v114, v82 :: v_dual_add_f32 v140, v117, v119
	v_dual_sub_f32 v135, v82, v114 :: v_dual_sub_f32 v148, v121, v119
	v_dual_add_f32 v139, v51, v115 :: v_dual_sub_f32 v146, v76, v82
	v_dual_sub_f32 v147, v115, v117 :: v_dual_add_f32 v152, v86, v87
	v_add_f32_e32 v149, v115, v121
	v_dual_sub_f32 v105, v117, v119 :: v_dual_add_f32 v122, v75, v114
	v_dual_sub_f32 v145, v75, v114 :: v_dual_add_f32 v108, v74, v108
	v_dual_sub_f32 v115, v117, v115 :: v_dual_sub_f32 v150, v119, v121
	v_fma_f32 v74, -0.5, v77, v48
	v_add_f32_e32 v151, v81, v84
	v_fma_f32 v48, -0.5, v85, v48
	v_dual_add_f32 v81, v90, v109 :: v_dual_add_f32 v86, v44, v83
	v_fma_f32 v75, -0.5, v93, v49
	v_dual_add_f32 v109, v96, v97 :: v_dual_add_f32 v96, v83, v143
	;; [unrolled: 2-line block ×3, first 2 shown]
	v_add_f32_e32 v84, v102, v76
	v_fma_f32 v76, -0.5, v103, v50
	v_add_f32_e32 v103, v106, v107
	v_dual_add_f32 v106, v132, v135 :: v_dual_add_f32 v85, v139, v117
	v_sub_f32_e32 v102, v78, v116
	v_fma_f32 v77, -0.5, v140, v51
	v_dual_add_f32 v107, v147, v148 :: v_dual_sub_f32 v132, v120, v118
	v_dual_fmac_f32 v51, -0.5, v149 :: v_dual_add_f32 v140, v78, v120
	v_dual_sub_f32 v97, v89, v83 :: v_dual_sub_f32 v156, v79, v88
	v_dual_sub_f32 v99, v141, v143 :: v_dual_add_f32 v158, v79, v144
	v_dual_sub_f32 v139, v89, v141 :: v_dual_add_f32 v202, v70, v71
	;; [unrolled: 1-line block ×3, first 2 shown]
	v_dual_add_f32 v149, v46, v79 :: v_dual_sub_f32 v200, v133, v134
	v_fma_f32 v50, -0.5, v122, v50
	v_dual_add_f32 v115, v115, v150 :: v_dual_sub_f32 v148, v118, v120
	v_dual_add_f32 v87, v89, v141 :: v_dual_add_f32 v150, v88, v98
	v_dual_sub_f32 v117, v78, v120 :: v_dual_sub_f32 v90, v83, v89
	v_dual_sub_f32 v122, v116, v118 :: v_dual_sub_f32 v93, v143, v141
	v_sub_f32_e32 v154, v80, v134
	v_dual_add_f32 v101, v116, v118 :: v_dual_sub_f32 v160, v98, v144
	v_dual_sub_f32 v157, v144, v98 :: v_dual_sub_f32 v166, v134, v133
	v_dual_sub_f32 v159, v88, v79 :: v_dual_sub_f32 v206, v2, v69
	v_dual_add_f32 v161, v47, v80 :: v_dual_add_f32 v210, v72, v73
	v_dual_sub_f32 v163, v79, v144 :: v_dual_add_f32 v108, v108, v110
	v_dual_sub_f32 v165, v80, v123 :: v_dual_fmamk_f32 v78, v91, 0x3f737871, v74
	v_dual_add_f32 v167, v80, v134 :: v_dual_fmac_f32 v74, 0xbf737871, v91
	v_dual_sub_f32 v199, v123, v80 :: v_dual_fmamk_f32 v80, v92, 0xbf737871, v48
	v_dual_add_f32 v201, v0, v72 :: v_dual_add_f32 v110, v81, v111
	v_sub_f32_e32 v207, v3, v68
	v_dual_sub_f32 v209, v73, v71 :: v_dual_fmac_f32 v48, 0x3f737871, v92
	v_fmamk_f32 v79, v94, 0xbf737871, v75
	v_fmac_f32_e32 v75, 0x3f737871, v94
	v_add_f32_e32 v111, v84, v82
	v_fmamk_f32 v82, v104, 0x3f737871, v76
	v_dual_fmac_f32 v76, 0xbf737871, v104 :: v_dual_add_f32 v211, v86, v89
	v_dual_fmac_f32 v78, 0x3f167918, v92 :: v_dual_add_f32 v213, v97, v99
	v_fmac_f32_e32 v74, 0xbf167918, v92
	v_dual_add_f32 v97, v100, v116 :: v_dual_fmac_f32 v80, 0x3f167918, v91
	v_add_f32_e32 v116, v102, v132
	v_dual_add_f32 v99, v149, v88 :: v_dual_fmac_f32 v48, 0xbf167918, v91
	v_fma_f32 v89, -0.5, v162, v47
	v_fma_f32 v132, -0.5, v202, v0
	v_dual_sub_f32 v135, v83, v143 :: v_dual_sub_f32 v164, v88, v98
	v_dual_sub_f32 v155, v123, v133 :: v_dual_sub_f32 v208, v72, v70
	v_dual_fmamk_f32 v81, v95, 0x3f737871, v49 :: v_dual_add_f32 v212, v90, v93
	v_dual_fmac_f32 v49, 0xbf737871, v95 :: v_dual_fmamk_f32 v84, v105, 0xbf737871, v50
	v_dual_fmac_f32 v50, 0x3f737871, v105 :: v_dual_add_f32 v119, v85, v119
	v_fmamk_f32 v83, v145, 0xbf737871, v77
	v_fmac_f32_e32 v77, 0x3f737871, v145
	v_dual_fmamk_f32 v85, v146, 0x3f737871, v51 :: v_dual_add_f32 v90, v108, v112
	v_fma_f32 v86, -0.5, v87, v44
	v_fma_f32 v44, -0.5, v96, v44
	;; [unrolled: 1-line block ×5, first 2 shown]
	v_dual_add_f32 v101, v161, v123 :: v_dual_fmac_f32 v82, 0x3f167918, v105
	v_dual_add_f32 v123, v165, v166 :: v_dual_fmac_f32 v76, 0xbf167918, v105
	v_dual_add_f32 v150, v201, v70 :: v_dual_fmac_f32 v79, 0xbf167918, v95
	v_dual_add_f32 v108, v99, v98 :: v_dual_fmac_f32 v75, 0x3f167918, v95
	v_fmamk_f32 v99, v163, 0xbf737871, v89
	v_dual_fmac_f32 v89, 0x3f737871, v163 :: v_dual_fmamk_f32 v102, v206, 0x3f737871, v132
	v_dual_fmac_f32 v51, 0xbf737871, v146 :: v_dual_add_f32 v140, v147, v148
	v_fma_f32 v46, -0.5, v158, v46
	v_dual_add_f32 v148, v159, v160 :: v_dual_fmac_f32 v47, -0.5, v167
	v_fmac_f32_e32 v84, 0x3f167918, v104
	v_add_f32_e32 v149, v199, v200
	v_dual_add_f32 v91, v110, v113 :: v_dual_fmac_f32 v50, 0xbf167918, v104
	v_dual_add_f32 v93, v119, v121 :: v_dual_fmamk_f32 v96, v122, 0xbf737871, v44
	v_fmac_f32_e32 v49, 0x3f167918, v94
	v_dual_fmac_f32 v77, 0x3f167918, v146 :: v_dual_add_f32 v104, v211, v141
	v_fmac_f32_e32 v81, 0xbf167918, v94
	v_fmamk_f32 v94, v117, 0x3f737871, v86
	v_dual_fmac_f32 v86, 0xbf737871, v117 :: v_dual_add_f32 v105, v97, v118
	v_fmac_f32_e32 v44, 0x3f737871, v122
	v_fmamk_f32 v95, v135, 0xbf737871, v87
	v_fmac_f32_e32 v87, 0x3f737871, v135
	v_fmac_f32_e32 v83, 0xbf167918, v146
	v_dual_fmamk_f32 v97, v139, 0x3f737871, v45 :: v_dual_fmamk_f32 v98, v154, 0x3f737871, v88
	v_add_f32_e32 v110, v101, v133
	v_dual_fmac_f32 v78, 0x3e9e377a, v151 :: v_dual_fmac_f32 v79, 0x3e9e377a, v109
	v_dual_fmac_f32 v74, 0x3e9e377a, v151 :: v_dual_fmac_f32 v75, 0x3e9e377a, v109
	v_dual_fmac_f32 v82, 0x3e9e377a, v103 :: v_dual_add_f32 v105, v105, v120
	v_fmac_f32_e32 v76, 0x3e9e377a, v103
	v_dual_fmac_f32 v102, 0x3f167918, v207 :: v_dual_add_f32 v109, v208, v209
	v_add_f32_e32 v103, v150, v71
	v_fma_f32 v0, -0.5, v210, v0
	v_dual_fmac_f32 v132, 0xbf737871, v206 :: v_dual_add_f32 v147, v156, v157
	v_dual_add_f32 v92, v111, v114 :: v_dual_fmac_f32 v45, 0xbf737871, v139
	v_fmamk_f32 v100, v155, 0xbf737871, v46
	v_dual_fmac_f32 v46, 0x3f737871, v155 :: v_dual_fmamk_f32 v101, v164, 0x3f737871, v47
	v_fmac_f32_e32 v50, 0x3e9e377a, v106
	v_fmac_f32_e32 v44, 0xbf167918, v117
	v_dual_fmac_f32 v84, 0x3e9e377a, v106 :: v_dual_fmac_f32 v83, 0x3e9e377a, v107
	v_dual_fmac_f32 v97, 0xbf167918, v135 :: v_dual_add_f32 v112, v1, v2
	v_dual_add_f32 v106, v108, v144 :: v_dual_fmac_f32 v77, 0x3e9e377a, v107
	v_dual_add_f32 v107, v110, v134 :: v_dual_fmac_f32 v102, 0x3e9e377a, v109
	v_dual_fmac_f32 v47, 0xbf737871, v164 :: v_dual_add_f32 v108, v103, v73
	v_dual_fmamk_f32 v110, v207, 0xbf737871, v0 :: v_dual_sub_f32 v103, v70, v72
	v_dual_sub_f32 v111, v71, v73 :: v_dual_fmac_f32 v132, 0xbf167918, v207
	v_dual_add_f32 v113, v3, v68 :: v_dual_fmac_f32 v0, 0x3f737871, v207
	v_dual_fmac_f32 v101, 0xbf167918, v163 :: v_dual_sub_f32 v72, v72, v73
	v_fmac_f32_e32 v47, 0x3f167918, v163
	s_delay_alu instid0(VALU_DEP_4) | instskip(NEXT) | instid1(VALU_DEP_4)
	v_dual_add_f32 v111, v103, v111 :: v_dual_fmac_f32 v132, 0x3e9e377a, v109
	v_dual_add_f32 v103, v112, v3 :: v_dual_fmac_f32 v0, 0xbf167918, v206
	v_fma_f32 v133, -0.5, v113, v1
	v_add_f32_e32 v109, v2, v69
	v_dual_fmac_f32 v45, 0x3f167918, v135 :: v_dual_fmac_f32 v110, 0x3f167918, v206
	s_delay_alu instid0(VALU_DEP_4) | instskip(NEXT) | instid1(VALU_DEP_4)
	v_dual_add_f32 v73, v103, v68 :: v_dual_fmac_f32 v0, 0x3e9e377a, v111
	v_dual_fmamk_f32 v103, v72, 0xbf737871, v133 :: v_dual_sub_f32 v70, v70, v71
	v_dual_sub_f32 v71, v2, v3 :: v_dual_sub_f32 v112, v69, v68
	v_dual_fmac_f32 v47, 0x3e9e377a, v149 :: v_dual_sub_f32 v2, v3, v2
	v_sub_f32_e32 v3, v68, v69
	v_fmac_f32_e32 v1, -0.5, v109
	v_dual_fmac_f32 v101, 0x3e9e377a, v149 :: v_dual_fmac_f32 v110, 0x3e9e377a, v111
	v_add_f32_e32 v104, v104, v143
	s_delay_alu instid0(VALU_DEP_4) | instskip(NEXT) | instid1(VALU_DEP_4)
	v_add_f32_e32 v2, v2, v3
	v_fmamk_f32 v111, v70, 0x3f737871, v1
	v_fmac_f32_e32 v1, 0xbf737871, v70
	v_mul_u32_u24_e32 v3, 0x41, v60
	v_dual_fmac_f32 v80, 0x3e9e377a, v152 :: v_dual_fmac_f32 v81, 0x3e9e377a, v153
	s_delay_alu instid0(VALU_DEP_4) | instskip(NEXT) | instid1(VALU_DEP_4)
	v_fmac_f32_e32 v111, 0xbf167918, v72
	v_fmac_f32_e32 v1, 0x3f167918, v72
	s_delay_alu instid0(VALU_DEP_4)
	v_add_nc_u32_e32 v3, v3, v61
	v_fmac_f32_e32 v96, 0x3f167918, v117
	v_dual_fmac_f32 v48, 0x3e9e377a, v152 :: v_dual_fmac_f32 v49, 0x3e9e377a, v153
	v_fmac_f32_e32 v111, 0x3e9e377a, v2
	v_fmac_f32_e32 v1, 0x3e9e377a, v2
	v_mul_u32_u24_e32 v2, 0x41, v57
	v_lshl_add_u32 v60, v3, 3, v204
	v_and_b32_e32 v3, 0xffff, v64
	v_add_f32_e32 v109, v73, v69
	v_and_b32_e32 v57, 0xffff, v67
	v_add_nc_u32_e32 v2, v2, v59
	ds_store_2addr_b64 v60, v[80:81], v[48:49] offset0:26 offset1:39
	v_mul_u32_u24_e32 v3, 0x41, v3
	v_and_b32_e32 v48, 0xffff, v66
	v_fmac_f32_e32 v88, 0xbf737871, v154
	v_lshl_add_u32 v59, v2, 3, v204
	v_mul_u32_u24_e32 v2, 0x41, v57
	v_add_nc_u32_e32 v3, v3, v62
	v_mul_u32_u24_e32 v48, 0x41, v48
	v_dual_fmac_f32 v85, 0xbf167918, v145 :: v_dual_fmac_f32 v86, 0xbf167918, v122
	v_dual_fmac_f32 v51, 0x3f167918, v145 :: v_dual_fmac_f32 v94, 0x3f167918, v122
	;; [unrolled: 1-line block ×6, first 2 shown]
	v_dual_fmac_f32 v103, 0xbf167918, v70 :: v_dual_add_nc_u32 v2, v2, v63
	v_fmac_f32_e32 v133, 0x3f737871, v72
	v_add_f32_e32 v71, v71, v112
	v_lshl_add_u32 v49, v3, 3, v204
	v_add_nc_u32_e32 v3, v48, v65
	v_dual_fmac_f32 v85, 0x3e9e377a, v115 :: v_dual_fmac_f32 v94, 0x3e9e377a, v212
	v_dual_fmac_f32 v51, 0x3e9e377a, v115 :: v_dual_fmac_f32 v86, 0x3e9e377a, v212
	;; [unrolled: 1-line block ×6, first 2 shown]
	v_fmac_f32_e32 v133, 0x3f167918, v70
	v_lshl_add_u32 v48, v2, 3, v204
	v_dual_fmac_f32 v97, 0x3e9e377a, v140 :: v_dual_fmac_f32 v98, 0x3e9e377a, v147
	v_dual_fmac_f32 v100, 0x3e9e377a, v148 :: v_dual_fmac_f32 v99, 0x3e9e377a, v123
	v_fmac_f32_e32 v103, 0x3e9e377a, v71
	v_lshl_add_u32 v2, v3, 3, v204
	ds_store_2addr_b64 v60, v[90:91], v[78:79] offset1:13
	s_clause 0x1
	scratch_store_b32 off, v60, off offset:48
	scratch_store_b32 off, v59, off offset:64
	ds_store_b64 v60, v[74:75] offset:416
	ds_store_2addr_b64 v59, v[92:93], v[82:83] offset1:13
	ds_store_2addr_b64 v59, v[84:85], v[50:51] offset0:26 offset1:39
	ds_store_b64 v59, v[76:77] offset:416
	ds_store_2addr_b64 v49, v[104:105], v[94:95] offset1:13
	ds_store_2addr_b64 v49, v[96:97], v[44:45] offset0:26 offset1:39
	scratch_store_b32 off, v49, off offset:60 ; 4-byte Folded Spill
	ds_store_b64 v49, v[86:87] offset:416
	ds_store_2addr_b64 v48, v[106:107], v[98:99] offset1:13
	ds_store_2addr_b64 v48, v[100:101], v[46:47] offset0:26 offset1:39
	scratch_store_b32 off, v48, off offset:56 ; 4-byte Folded Spill
	ds_store_b64 v48, v[88:89] offset:416
	ds_store_2addr_b64 v2, v[108:109], v[102:103] offset1:13
	ds_store_2addr_b64 v2, v[110:111], v[0:1] offset0:26 offset1:39
	v_add_nc_u32_e32 v0, 0xc00, v203
	v_fmac_f32_e32 v133, 0x3e9e377a, v71
	scratch_store_b32 off, v2, off offset:52 ; 4-byte Folded Spill
                                        ; implicit-def: $vgpr134
	ds_store_b64 v2, v[132:133] offset:416
	global_wb scope:SCOPE_SE
	s_wait_storecnt_dscnt 0x0
	s_barrier_signal -1
	s_barrier_wait -1
	global_inv scope:SCOPE_SE
	ds_load_2addr_b64 v[88:91], v203 offset1:39
	ds_load_2addr_b64 v[116:119], v58 offset0:69 offset1:108
	ds_load_2addr_b64 v[120:123], v55 offset0:138 offset1:177
	;; [unrolled: 1-line block ×11, first 2 shown]
	s_and_saveexec_b32 s1, s0
	s_cbranch_execz .LBB0_9
; %bb.8:
	ds_load_b64 v[132:133], v203 offset:2496
	ds_load_b64 v[124:125], v203 offset:5096
	;; [unrolled: 1-line block ×3, first 2 shown]
.LBB0_9:
	s_wait_alu 0xfffe
	s_or_b32 exec_lo, exec_lo, s1
	v_lshlrev_b64_e32 v[0:1], 4, v[187:188]
	v_add_co_u32 v2, s1, 0xffffffe6, v187
	s_wait_alu 0xf1ff
	v_add_co_ci_u32_e64 v3, null, 0, -1, s1
	v_cmp_gt_u16_e64 s1, 26, v187
	s_delay_alu instid0(VALU_DEP_4) | instskip(SKIP_2) | instid1(VALU_DEP_3)
	v_add_co_u32 v0, s2, s8, v0
	s_wait_alu 0xf1ff
	v_add_co_ci_u32_e64 v1, s2, s9, v1, s2
	v_cndmask_b32_e64 v140, v3, v52, s1
	v_cndmask_b32_e64 v139, v2, v137, s1
	s_clause 0x1
	global_load_b128 v[48:51], v[0:1], off offset:416
	global_load_b128 v[44:47], v[0:1], off offset:624
	v_add_nc_u32_e32 v64, 0x138, v187
	v_lshlrev_b64_e32 v[2:3], 4, v[139:140]
	s_delay_alu instid0(VALU_DEP_1) | instskip(SKIP_1) | instid1(VALU_DEP_2)
	v_add_co_u32 v0, s1, s8, v2
	s_wait_alu 0xf1ff
	v_add_co_ci_u32_e64 v1, s1, s9, v3, s1
	v_mul_lo_u16 v2, 0xfd, v53
	global_load_b128 v[52:55], v[0:1], off offset:416
	v_mul_lo_u16 v0, 0xfd, v56
	v_lshrrev_b16 v140, 14, v2
	s_delay_alu instid0(VALU_DEP_2) | instskip(NEXT) | instid1(VALU_DEP_2)
	v_lshrrev_b16 v0, 14, v0
	v_mul_lo_u16 v1, 0x41, v140
	s_delay_alu instid0(VALU_DEP_2) | instskip(NEXT) | instid1(VALU_DEP_2)
	v_mul_lo_u16 v0, 0x41, v0
	v_sub_nc_u16 v1, v126, v1
	s_delay_alu instid0(VALU_DEP_2) | instskip(NEXT) | instid1(VALU_DEP_2)
	v_sub_nc_u16 v0, v128, v0
	v_and_b32_e32 v141, 0xff, v1
	v_add_nc_u16 v1, v187, 0xc3
	s_delay_alu instid0(VALU_DEP_3) | instskip(NEXT) | instid1(VALU_DEP_3)
	v_and_b32_e32 v143, 0xff, v0
	v_lshlrev_b32_e32 v0, 4, v141
	s_delay_alu instid0(VALU_DEP_3) | instskip(NEXT) | instid1(VALU_DEP_3)
	v_and_b32_e32 v2, 0xff, v1
	v_lshlrev_b32_e32 v3, 4, v143
	s_clause 0x1
	global_load_b128 v[60:63], v0, s[8:9] offset:416
	global_load_b128 v[56:59], v3, s[8:9] offset:416
	v_mul_lo_u16 v0, 0xfd, v2
	v_add_co_u32 v2, null, 0xea, v187
	v_add_nc_u32_e32 v3, 0x111, v187
	s_delay_alu instid0(VALU_DEP_3) | instskip(NEXT) | instid1(VALU_DEP_3)
	v_lshrrev_b16 v0, 14, v0
	v_and_b32_e32 v65, 0xffff, v2
	s_delay_alu instid0(VALU_DEP_3) | instskip(NEXT) | instid1(VALU_DEP_3)
	v_and_b32_e32 v66, 0xffff, v3
	v_mul_lo_u16 v0, 0x41, v0
	s_delay_alu instid0(VALU_DEP_1) | instskip(NEXT) | instid1(VALU_DEP_1)
	v_sub_nc_u16 v0, v1, v0
	v_and_b32_e32 v144, 0xff, v0
	s_delay_alu instid0(VALU_DEP_1) | instskip(SKIP_4) | instid1(VALU_DEP_3)
	v_lshl_add_u32 v163, v144, 3, v204
	s_wait_loadcnt_dscnt 0x306
	v_mul_f32_e32 v150, v108, v47
	v_mul_u32_u24_e32 v1, 0xfc1, v65
	v_mul_u32_u24_e32 v65, 0xfc1, v66
	v_fmac_f32_e32 v150, v109, v46
	s_delay_alu instid0(VALU_DEP_3) | instskip(NEXT) | instid1(VALU_DEP_3)
	v_lshrrev_b32_e32 v145, 18, v1
	v_lshrrev_b32_e32 v0, 18, v65
	v_dual_mul_f32 v144, v116, v49 :: v_dual_lshlrev_b32 v65, 4, v144
	v_lshl_add_u32 v162, v143, 3, v204
	v_mul_f32_e32 v143, v117, v49
	v_and_b32_e32 v67, 0xffff, v64
	v_mul_lo_u16 v0, 0x41, v0
	v_fmac_f32_e32 v144, v117, v48
	global_load_b128 v[68:71], v65, s[8:9] offset:416
	v_fma_f32 v116, v116, v48, -v143
	v_mul_u32_u24_e32 v66, 0xfc1, v67
	v_sub_nc_u16 v147, v3, v0
	s_delay_alu instid0(VALU_DEP_3) | instskip(NEXT) | instid1(VALU_DEP_3)
	v_add_f32_e32 v143, v88, v116
	v_lshrrev_b32_e32 v1, 18, v66
	v_mul_lo_u16 v66, 0x41, v145
	s_delay_alu instid0(VALU_DEP_2) | instskip(NEXT) | instid1(VALU_DEP_2)
	v_mul_lo_u16 v1, 0x41, v1
	v_sub_nc_u16 v146, v2, v66
	s_delay_alu instid0(VALU_DEP_2) | instskip(NEXT) | instid1(VALU_DEP_2)
	v_sub_nc_u16 v148, v64, v1
	v_lshlrev_b16 v0, 4, v146
	v_lshlrev_b16 v1, 4, v147
	s_delay_alu instid0(VALU_DEP_3) | instskip(NEXT) | instid1(VALU_DEP_3)
	v_lshlrev_b16 v2, 4, v148
	v_and_b32_e32 v0, 0xffff, v0
	s_delay_alu instid0(VALU_DEP_3) | instskip(NEXT) | instid1(VALU_DEP_3)
	v_and_b32_e32 v3, 0xffff, v1
	v_and_b32_e32 v64, 0xffff, v2
	s_delay_alu instid0(VALU_DEP_3)
	v_add_co_u32 v0, s1, s8, v0
	s_wait_alu 0xf1ff
	v_add_co_ci_u32_e64 v1, null, s9, 0, s1
	v_add_co_u32 v2, s1, s8, v3
	s_wait_alu 0xf1ff
	v_add_co_ci_u32_e64 v3, null, s9, 0, s1
	global_load_b128 v[72:75], v[0:1], off offset:416
	v_add_co_u32 v0, s1, s8, v64
	s_wait_alu 0xf1ff
	v_add_co_ci_u32_e64 v1, null, s9, 0, s1
	s_clause 0x1
	global_load_b128 v[64:67], v[2:3], off offset:416
	global_load_b128 v[0:3], v[0:1], off offset:416
	v_cmp_lt_u16_e64 s1, 25, v187
	s_wait_alu 0xf1ff
	s_delay_alu instid0(VALU_DEP_1) | instskip(NEXT) | instid1(VALU_DEP_1)
	v_cndmask_b32_e64 v149, 0, 0xc3, s1
	v_add_nc_u32_e32 v139, v139, v149
	v_mul_f32_e32 v149, v109, v47
	s_wait_loadcnt 0x6
	v_mul_f32_e32 v109, v123, v55
	s_delay_alu instid0(VALU_DEP_3) | instskip(SKIP_3) | instid1(VALU_DEP_3)
	v_lshl_add_u32 v164, v139, 3, v204
	v_mad_u16 v139, 0xc3, v145, v146
	v_mul_f32_e32 v145, v121, v51
	v_mul_f32_e32 v146, v120, v51
	v_and_b32_e32 v139, 0xffff, v139
	s_delay_alu instid0(VALU_DEP_3) | instskip(SKIP_3) | instid1(VALU_DEP_4)
	v_fma_f32 v117, v120, v50, -v145
	v_mul_f32_e32 v120, v118, v53
	v_and_b32_e32 v140, 0xffff, v140
	v_dual_fmac_f32 v146, v121, v50 :: v_dual_mul_f32 v121, v122, v55
	v_add_f32_e32 v145, v116, v117
	v_lshl_add_u32 v165, v139, 3, v204
	s_delay_alu instid0(VALU_DEP_4) | instskip(SKIP_3) | instid1(VALU_DEP_4)
	v_mul_u32_u24_e32 v140, 0xc3, v140
	v_dual_sub_f32 v151, v116, v117 :: v_dual_fmac_f32 v120, v119, v52
	v_fma_f32 v122, v122, v54, -v109
	v_fma_f32 v88, -0.5, v145, v88
	v_add_nc_u32_e32 v140, v140, v141
	v_and_b32_e32 v141, 0xffff, v147
	v_mul_f32_e32 v147, v113, v45
	s_delay_alu instid0(VALU_DEP_2) | instskip(SKIP_1) | instid1(VALU_DEP_3)
	v_lshl_add_u32 v161, v141, 3, v204
	v_dual_mul_f32 v148, v112, v45 :: v_dual_and_b32 v141, 0xffff, v148
	v_fma_f32 v112, v112, v44, -v147
	v_sub_f32_e32 v147, v144, v146
	s_wait_loadcnt 0x5
	s_delay_alu instid0(VALU_DEP_3)
	v_dual_mul_f32 v145, v110, v63 :: v_dual_fmac_f32 v148, v113, v44
	v_fma_f32 v113, v108, v46, -v149
	v_dual_mul_f32 v108, v119, v53 :: v_dual_add_f32 v149, v89, v144
	v_add_f32_e32 v144, v144, v146
	v_lshl_add_u32 v166, v140, 3, v204
	v_add_nc_u32_e32 v140, 0x800, v162
	v_dual_add_f32 v154, v85, v148 :: v_dual_add_nc_u32 v139, 0x1800, v161
	v_add_f32_e32 v116, v84, v112
	v_add_f32_e32 v152, v112, v113
	scratch_store_b32 off, v141, off offset:68 ; 4-byte Folded Spill
	v_add_nc_u32_e32 v141, 0x1000, v163
	v_sub_f32_e32 v153, v148, v150
	v_add_f32_e32 v148, v148, v150
	v_sub_f32_e32 v155, v112, v113
	v_fma_f32 v118, v118, v52, -v108
	v_dual_fmac_f32 v121, v123, v54 :: v_dual_add_f32 v112, v116, v113
	v_fma_f32 v89, -0.5, v144, v89
	v_mul_f32_e32 v123, v115, v61
	v_mul_f32_e32 v144, v111, v63
	v_dual_add_f32 v108, v143, v117 :: v_dual_add_f32 v109, v149, v146
	v_fma_f32 v116, -0.5, v152, v84
	s_wait_loadcnt_dscnt 0x404
	v_dual_add_f32 v113, v154, v150 :: v_dual_mul_f32 v146, v101, v57
	v_fma_f32 v117, -0.5, v148, v85
	s_wait_dscnt 0x3
	v_dual_mul_f32 v143, v114, v61 :: v_dual_mul_f32 v150, v104, v59
	v_dual_mul_f32 v148, v100, v57 :: v_dual_mul_f32 v149, v105, v59
	v_sub_f32_e32 v152, v120, v121
	v_fmamk_f32 v84, v147, 0x3f5db3d7, v88
	v_dual_fmac_f32 v88, 0xbf5db3d7, v147 :: v_dual_fmamk_f32 v85, v151, 0xbf5db3d7, v89
	v_dual_fmac_f32 v89, 0x3f5db3d7, v151 :: v_dual_add_f32 v154, v91, v120
	v_dual_add_f32 v147, v90, v118 :: v_dual_add_f32 v120, v120, v121
	v_add_f32_e32 v151, v118, v122
	v_fma_f32 v114, v114, v60, -v123
	v_fma_f32 v110, v110, v62, -v144
	global_wb scope:SCOPE_SE
	s_wait_storecnt 0x0
	s_wait_loadcnt_dscnt 0x0
	s_barrier_signal -1
	s_barrier_wait -1
	global_inv scope:SCOPE_SE
	v_dual_sub_f32 v156, v118, v122 :: v_dual_fmamk_f32 v119, v155, 0xbf5db3d7, v117
	v_fmamk_f32 v118, v153, 0x3f5db3d7, v116
	v_dual_fmac_f32 v116, 0xbf5db3d7, v153 :: v_dual_fmac_f32 v143, v115, v60
	v_dual_fmac_f32 v117, 0x3f5db3d7, v155 :: v_dual_fmac_f32 v148, v101, v56
	v_fmac_f32_e32 v145, v111, v62
	v_fma_f32 v111, v100, v56, -v146
	v_fma_f32 v104, v104, v58, -v149
	v_dual_fmac_f32 v150, v105, v58 :: v_dual_add_f32 v101, v154, v121
	v_dual_add_f32 v100, v147, v122 :: v_dual_fmac_f32 v91, -0.5, v120
	v_fma_f32 v90, -0.5, v151, v90
	ds_store_2addr_b64 v203, v[108:109], v[84:85] offset1:65
	ds_store_b64 v203, v[88:89] offset:1040
	v_dual_add_f32 v121, v87, v143 :: v_dual_sub_f32 v144, v148, v150
	v_dual_add_f32 v123, v76, v111 :: v_dual_add_f32 v146, v77, v148
	v_add_f32_e32 v147, v148, v150
	scratch_store_b32 off, v164, off offset:84 ; 4-byte Folded Spill
	v_fmamk_f32 v88, v152, 0x3f5db3d7, v90
	v_fmac_f32_e32 v90, 0xbf5db3d7, v152
	v_dual_mul_f32 v84, v103, v69 :: v_dual_mul_f32 v109, v106, v71
	v_dual_mul_f32 v108, v102, v69 :: v_dual_mul_f32 v85, v107, v71
	v_dual_add_f32 v115, v114, v110 :: v_dual_add_f32 v122, v143, v145
	v_dual_add_f32 v105, v86, v114 :: v_dual_sub_f32 v120, v143, v145
	v_dual_sub_f32 v114, v114, v110 :: v_dual_add_f32 v143, v111, v104
	v_sub_f32_e32 v111, v111, v104
	v_dual_fmamk_f32 v89, v156, 0xbf5db3d7, v91 :: v_dual_fmac_f32 v108, v103, v68
	v_fmac_f32_e32 v91, 0x3f5db3d7, v156
	v_fma_f32 v148, v102, v68, -v84
	v_fma_f32 v149, v106, v70, -v85
	v_fmac_f32_e32 v109, v107, v70
	v_fma_f32 v86, -0.5, v115, v86
	v_fmac_f32_e32 v87, -0.5, v122
	v_fma_f32 v106, -0.5, v143, v76
	v_fma_f32 v107, -0.5, v147, v77
	ds_store_2addr_b64 v164, v[100:101], v[88:89] offset1:65
	v_fmamk_f32 v88, v120, 0x3f5db3d7, v86
	v_add_f32_e32 v104, v123, v104
	v_dual_add_f32 v102, v105, v110 :: v_dual_fmamk_f32 v89, v114, 0xbf5db3d7, v87
	v_fmac_f32_e32 v87, 0x3f5db3d7, v114
	v_dual_add_f32 v105, v146, v150 :: v_dual_fmac_f32 v86, 0xbf5db3d7, v120
	v_mul_f32_e32 v151, v93, v73
	v_dual_mul_f32 v152, v92, v73 :: v_dual_mul_f32 v153, v97, v75
	v_mul_f32_e32 v154, v96, v75
	ds_store_b64 v164, v[90:91] offset:1040
	ds_store_2addr_b64 v138, v[112:113], v[118:119] offset0:80 offset1:145
	ds_store_b64 v203, v[116:117] offset:2704
	v_dual_fmamk_f32 v90, v144, 0x3f5db3d7, v106 :: v_dual_mul_f32 v155, v95, v65
	v_mul_f32_e32 v84, v134, v3
	v_dual_mul_f32 v156, v94, v65 :: v_dual_mul_f32 v157, v99, v67
	v_dual_mul_f32 v158, v98, v67 :: v_dual_mul_f32 v159, v125, v1
	;; [unrolled: 1-line block ×3, first 2 shown]
	v_fmac_f32_e32 v152, v93, v72
	s_delay_alu instid0(VALU_DEP_4)
	v_dual_add_f32 v103, v121, v145 :: v_dual_fmac_f32 v156, v95, v64
	v_fma_f32 v100, v92, v72, -v151
	v_fma_f32 v96, v96, v74, -v153
	v_fmac_f32_e32 v154, v97, v74
	v_fma_f32 v94, v94, v64, -v155
	v_fma_f32 v95, v98, v66, -v157
	v_dual_fmac_f32 v158, v99, v66 :: v_dual_fmac_f32 v85, v125, v0
	v_fma_f32 v77, v124, v0, -v159
	v_fma_f32 v76, v134, v2, -v160
	v_fmac_f32_e32 v84, v135, v2
	v_dual_add_f32 v92, v78, v148 :: v_dual_add_f32 v93, v148, v149
	v_dual_sub_f32 v97, v108, v109 :: v_dual_add_f32 v98, v79, v108
	v_dual_add_f32 v99, v108, v109 :: v_dual_add_f32 v112, v94, v95
	v_dual_fmac_f32 v106, 0xbf5db3d7, v144 :: v_dual_fmamk_f32 v91, v111, 0xbf5db3d7, v107
	s_delay_alu instid0(VALU_DEP_4) | instskip(NEXT) | instid1(VALU_DEP_3)
	v_dual_fmac_f32 v107, 0x3f5db3d7, v111 :: v_dual_add_f32 v92, v92, v149
	v_fmac_f32_e32 v79, -0.5, v99
	v_fma_f32 v78, -0.5, v93, v78
	v_dual_add_f32 v93, v98, v109 :: v_dual_add_f32 v98, v80, v100
	v_dual_add_f32 v99, v100, v96 :: v_dual_sub_f32 v116, v94, v95
	v_dual_add_f32 v110, v152, v154 :: v_dual_sub_f32 v117, v85, v84
	v_dual_sub_f32 v100, v100, v96 :: v_dual_add_f32 v111, v82, v94
	v_dual_sub_f32 v113, v156, v158 :: v_dual_add_f32 v94, v77, v76
	v_dual_add_f32 v115, v156, v158 :: v_dual_add_f32 v118, v85, v84
	v_dual_sub_f32 v101, v148, v149 :: v_dual_add_f32 v114, v83, v156
	v_dual_sub_f32 v108, v152, v154 :: v_dual_add_f32 v109, v81, v152
	v_sub_f32_e32 v120, v77, v76
	v_fma_f32 v80, -0.5, v99, v80
	v_fma_f32 v81, -0.5, v110, v81
	;; [unrolled: 1-line block ×3, first 2 shown]
	v_fmac_f32_e32 v83, -0.5, v115
	v_fma_f32 v199, -0.5, v94, v132
	v_fmamk_f32 v94, v108, 0x3f5db3d7, v80
	v_fma_f32 v200, -0.5, v118, v133
	ds_store_2addr_b64 v166, v[102:103], v[88:89] offset1:65
	scratch_store_b32 off, v166, off offset:92 ; 4-byte Folded Spill
	ds_store_b64 v166, v[86:87] offset:1040
	ds_store_2addr_b64 v140, v[104:105], v[90:91] offset0:134 offset1:199
	v_dual_fmamk_f32 v86, v97, 0x3f5db3d7, v78 :: v_dual_add_f32 v91, v114, v158
	v_dual_fmac_f32 v78, 0xbf5db3d7, v97 :: v_dual_fmamk_f32 v87, v101, 0xbf5db3d7, v79
	v_dual_fmac_f32 v79, 0x3f5db3d7, v101 :: v_dual_add_f32 v88, v98, v96
	v_dual_add_f32 v89, v109, v154 :: v_dual_add_f32 v90, v111, v95
	v_dual_fmamk_f32 v95, v100, 0xbf5db3d7, v81 :: v_dual_fmac_f32 v80, 0xbf5db3d7, v108
	v_fmamk_f32 v97, v116, 0xbf5db3d7, v83
	v_dual_fmac_f32 v81, 0x3f5db3d7, v100 :: v_dual_fmamk_f32 v96, v113, 0x3f5db3d7, v82
	v_fmac_f32_e32 v82, 0xbf5db3d7, v113
	v_fmac_f32_e32 v83, 0x3f5db3d7, v116
	v_fmamk_f32 v118, v117, 0x3f5db3d7, v199
	v_fmac_f32_e32 v199, 0xbf5db3d7, v117
	v_fmamk_f32 v119, v120, 0xbf5db3d7, v200
	v_fmac_f32_e32 v200, 0x3f5db3d7, v120
	ds_store_2addr_b64 v141, v[92:93], v[86:87] offset0:73 offset1:138
	s_clause 0x1
	scratch_store_b32 off, v162, off offset:76
	scratch_store_b32 off, v163, off offset:80
	ds_store_b64 v162, v[106:107] offset:4160
	ds_store_b64 v163, v[78:79] offset:5720
	ds_store_2addr_b64 v165, v[88:89], v[94:95] offset1:65
	scratch_store_b32 off, v165, off offset:88 ; 4-byte Folded Spill
	ds_store_b64 v165, v[80:81] offset:1040
	ds_store_2addr_b64 v139, v[90:91], v[96:97] offset0:12 offset1:77
	scratch_store_b32 off, v161, off offset:72 ; 4-byte Folded Spill
	ds_store_b64 v161, v[82:83] offset:7280
	s_and_saveexec_b32 s1, s0
	s_cbranch_execz .LBB0_11
; %bb.10:
	v_add_f32_e32 v79, v132, v77
	scratch_load_b32 v77, off, off offset:68 ; 4-byte Folded Reload
	v_add_f32_e32 v78, v133, v85
	s_wait_loadcnt 0x0
	v_lshl_add_u32 v80, v77, 3, v204
	s_delay_alu instid0(VALU_DEP_2) | instskip(NEXT) | instid1(VALU_DEP_2)
	v_add_f32_e32 v77, v78, v84
	v_add_nc_u32_e32 v78, 0x1800, v80
	v_add_f32_e32 v76, v79, v76
	ds_store_2addr_b64 v78, v[76:77], v[118:119] offset0:12 offset1:77
	ds_store_b64 v80, v[199:200] offset:7280
.LBB0_11:
	s_wait_alu 0xfffe
	s_or_b32 exec_lo, exec_lo, s1
	v_lshlrev_b32_e32 v88, 5, v187
	v_lshlrev_b32_e32 v90, 5, v137
	global_wb scope:SCOPE_SE
	s_wait_storecnt_dscnt 0x0
	s_barrier_signal -1
	s_barrier_wait -1
	global_inv scope:SCOPE_SE
	s_clause 0x2
	global_load_b128 v[80:83], v88, s[8:9] offset:1456
	global_load_b128 v[76:79], v90, s[8:9] offset:1456
	;; [unrolled: 1-line block ×3, first 2 shown]
	v_add_nc_u32_e32 v143, 0x800, v203
	v_add_nc_u32_e32 v145, 0x400, v203
	;; [unrolled: 1-line block ×4, first 2 shown]
	s_add_nc_u64 s[2:3], s[12:13], 0x1e78
	ds_load_2addr_b64 v[84:87], v143 offset0:134 offset1:173
	ds_load_2addr_b64 v[96:99], v145 offset0:106 offset1:145
	s_wait_loadcnt_dscnt 0x201
	v_mul_f32_e32 v89, v85, v83
	s_wait_loadcnt 0x1
	v_mul_f32_e32 v91, v87, v79
	v_mul_f32_e32 v134, v86, v79
	;; [unrolled: 1-line block ×3, first 2 shown]
	v_fma_f32 v117, v84, v82, -v89
	s_delay_alu instid0(VALU_DEP_4) | instskip(NEXT) | instid1(VALU_DEP_4)
	v_fma_f32 v135, v86, v78, -v91
	v_fmac_f32_e32 v134, v87, v78
	ds_load_2addr_b64 v[86:89], v144 offset0:12 offset1:51
	v_fmac_f32_e32 v116, v85, v82
	s_wait_loadcnt_dscnt 0x0
	v_mul_f32_e32 v84, v87, v95
	v_mul_f32_e32 v132, v86, v95
	s_delay_alu instid0(VALU_DEP_2) | instskip(NEXT) | instid1(VALU_DEP_2)
	v_fma_f32 v133, v86, v94, -v84
	v_fmac_f32_e32 v132, v87, v94
	global_load_b128 v[84:87], v90, s[8:9] offset:1472
	s_wait_loadcnt 0x0
	v_mul_f32_e32 v90, v89, v87
	v_mul_f32_e32 v137, v88, v87
	s_delay_alu instid0(VALU_DEP_2) | instskip(NEXT) | instid1(VALU_DEP_2)
	v_fma_f32 v140, v88, v86, -v90
	v_fmac_f32_e32 v137, v89, v86
	v_lshlrev_b64_e32 v[88:89], 5, v[130:131]
	v_mul_f32_e32 v130, v96, v77
	s_delay_alu instid0(VALU_DEP_2) | instskip(SKIP_1) | instid1(VALU_DEP_3)
	v_add_co_u32 v100, s1, s8, v88
	s_wait_alu 0xf1ff
	v_add_co_ci_u32_e64 v101, s1, s9, v89, s1
	v_mul_f32_e32 v88, v97, v77
	v_fmac_f32_e32 v130, v97, v76
	global_load_b128 v[104:107], v[100:101], off offset:1472
	v_fma_f32 v131, v96, v76, -v88
	global_load_b128 v[88:91], v[100:101], off offset:1456
	v_sub_f32_e32 v232, v131, v140
	s_wait_loadcnt 0x0
	v_mul_f32_e32 v96, v99, v89
	v_mul_f32_e32 v158, v98, v89
	s_delay_alu instid0(VALU_DEP_2) | instskip(NEXT) | instid1(VALU_DEP_2)
	v_fma_f32 v159, v98, v88, -v96
	v_fmac_f32_e32 v158, v99, v88
	ds_load_2addr_b64 v[96:99], v156 offset0:112 offset1:151
	s_wait_dscnt 0x0
	v_mul_f32_e32 v102, v97, v85
	v_mul_f32_e32 v153, v96, v85
	;; [unrolled: 1-line block ×3, first 2 shown]
	s_delay_alu instid0(VALU_DEP_3) | instskip(NEXT) | instid1(VALU_DEP_3)
	v_fma_f32 v154, v96, v84, -v102
	v_dual_mul_f32 v96, v99, v105 :: v_dual_fmac_f32 v153, v97, v84
	s_delay_alu instid0(VALU_DEP_3) | instskip(NEXT) | instid1(VALU_DEP_3)
	v_fmac_f32_e32 v163, v99, v104
	v_sub_f32_e32 v230, v135, v154
	s_delay_alu instid0(VALU_DEP_3) | instskip(SKIP_2) | instid1(VALU_DEP_2)
	v_fma_f32 v162, v98, v104, -v96
	v_lshlrev_b64_e32 v[96:97], 5, v[126:127]
	v_sub_f32_e32 v229, v134, v153
	v_add_co_u32 v100, s1, s8, v96
	s_wait_alu 0xf1ff
	s_delay_alu instid0(VALU_DEP_3)
	v_add_co_ci_u32_e64 v101, s1, s9, v97, s1
	ds_load_2addr_b64 v[96:99], v143 offset0:212 offset1:251
	global_load_b128 v[108:111], v[100:101], off offset:1456
	s_wait_dscnt 0x0
	v_mul_f32_e32 v102, v97, v91
	v_mul_f32_e32 v164, v96, v91
	s_delay_alu instid0(VALU_DEP_2) | instskip(NEXT) | instid1(VALU_DEP_2)
	v_fma_f32 v165, v96, v90, -v102
	v_fmac_f32_e32 v164, v97, v90
	s_delay_alu instid0(VALU_DEP_2) | instskip(SKIP_3) | instid1(VALU_DEP_2)
	v_sub_f32_e32 v244, v165, v162
	s_wait_loadcnt 0x0
	v_mul_f32_e32 v96, v99, v111
	v_mul_f32_e32 v150, v98, v111
	v_fma_f32 v152, v98, v110, -v96
	s_delay_alu instid0(VALU_DEP_2) | instskip(SKIP_4) | instid1(VALU_DEP_2)
	v_fmac_f32_e32 v150, v99, v110
	ds_load_2addr_b64 v[96:99], v144 offset0:90 offset1:129
	s_wait_dscnt 0x0
	v_mul_f32_e32 v102, v97, v107
	v_mul_f32_e32 v220, v96, v107
	v_fma_f32 v219, v96, v106, -v102
	global_load_b128 v[100:103], v[100:101], off offset:1472
	v_fmac_f32_e32 v220, v97, v106
	v_sub_f32_e32 v240, v159, v219
	s_wait_loadcnt 0x0
	v_mul_f32_e32 v155, v98, v103
	v_mul_f32_e32 v96, v99, v103
	s_delay_alu instid0(VALU_DEP_2) | instskip(NEXT) | instid1(VALU_DEP_2)
	v_fmac_f32_e32 v155, v99, v102
	v_fma_f32 v157, v98, v102, -v96
	v_lshlrev_b64_e32 v[96:97], 5, v[128:129]
	s_delay_alu instid0(VALU_DEP_1) | instskip(SKIP_1) | instid1(VALU_DEP_2)
	v_add_co_u32 v124, s1, s8, v96
	s_wait_alu 0xf1ff
	v_add_co_ci_u32_e64 v125, s1, s9, v97, s1
	ds_load_2addr_b64 v[96:99], v143 offset0:56 offset1:95
	s_wait_dscnt 0x0
	v_mul_f32_e32 v112, v97, v109
	v_mul_f32_e32 v160, v96, v109
	s_delay_alu instid0(VALU_DEP_2)
	v_fma_f32 v161, v96, v108, -v112
	global_load_b128 v[112:115], v[124:125], off offset:1456
	v_fmac_f32_e32 v160, v97, v108
	v_sub_f32_e32 v242, v161, v157
	s_wait_loadcnt 0x0
	v_mul_f32_e32 v96, v99, v113
	v_mul_f32_e32 v141, v98, v113
	s_delay_alu instid0(VALU_DEP_2) | instskip(NEXT) | instid1(VALU_DEP_2)
	v_fma_f32 v147, v98, v112, -v96
	v_fmac_f32_e32 v141, v99, v112
	ds_load_2addr_b64 v[96:99], v156 offset0:34 offset1:73
	s_wait_dscnt 0x0
	v_mul_f32_e32 v120, v99, v93
	v_mul_f32_e32 v201, v98, v93
	v_sub_f32_e32 v231, v130, v137
	s_delay_alu instid0(VALU_DEP_3) | instskip(NEXT) | instid1(VALU_DEP_3)
	v_fma_f32 v138, v98, v92, -v120
	v_fmac_f32_e32 v201, v99, v92
	ds_load_2addr_b64 v[120:123], v156 offset0:190 offset1:229
	v_mul_f32_e32 v98, v97, v115
	v_dual_sub_f32 v225, v117, v138 :: v_dual_mul_f32 v146, v96, v115
	v_add_f32_e32 v129, v116, v201
	s_delay_alu instid0(VALU_DEP_3) | instskip(SKIP_1) | instid1(VALU_DEP_4)
	v_fma_f32 v149, v96, v114, -v98
	v_sub_f32_e32 v224, v116, v201
	v_dual_sub_f32 v227, v138, v133 :: v_dual_fmac_f32 v146, v97, v114
	s_wait_dscnt 0x0
	v_mul_f32_e32 v96, v121, v101
	v_mul_f32_e32 v166, v120, v101
	s_delay_alu instid0(VALU_DEP_2)
	v_fma_f32 v167, v120, v100, -v96
	global_load_b128 v[96:99], v[124:125], off offset:1472
	v_fmac_f32_e32 v166, v121, v100
	v_dual_sub_f32 v125, v133, v138 :: v_dual_sub_f32 v246, v152, v167
	s_wait_loadcnt 0x0
	v_mul_f32_e32 v120, v123, v97
	v_mul_f32_e32 v148, v122, v97
	s_delay_alu instid0(VALU_DEP_2) | instskip(NEXT) | instid1(VALU_DEP_2)
	v_fma_f32 v151, v122, v96, -v120
	v_fmac_f32_e32 v148, v123, v96
	ds_load_2addr_b64 v[120:123], v203 offset0:156 offset1:195
	v_sub_f32_e32 v254, v149, v151
	s_wait_dscnt 0x0
	v_mul_f32_e32 v124, v123, v81
	v_mul_f32_e32 v218, v122, v81
	s_delay_alu instid0(VALU_DEP_2) | instskip(NEXT) | instid1(VALU_DEP_2)
	v_fma_f32 v139, v122, v80, -v124
	v_dual_fmac_f32 v218, v123, v80 :: v_dual_sub_f32 v123, v132, v201
	s_delay_alu instid0(VALU_DEP_2) | instskip(SKIP_1) | instid1(VALU_DEP_3)
	v_sub_f32_e32 v124, v139, v117
	v_sub_f32_e32 v226, v117, v139
	v_dual_sub_f32 v122, v218, v116 :: v_dual_sub_f32 v223, v139, v133
	v_sub_f32_e32 v222, v218, v132
	s_delay_alu instid0(VALU_DEP_4) | instskip(SKIP_4) | instid1(VALU_DEP_1)
	v_add_f32_e32 v202, v124, v125
	ds_load_2addr_b64 v[124:127], v203 offset1:39
	v_add_f32_e32 v221, v122, v123
	s_wait_dscnt 0x0
	v_fma_f32 v129, -0.5, v129, v125
	v_fmamk_f32 v123, v223, 0xbf737871, v129
	v_fmac_f32_e32 v129, 0x3f737871, v223
	v_sub_f32_e32 v243, v164, v163
	s_delay_alu instid0(VALU_DEP_3) | instskip(NEXT) | instid1(VALU_DEP_3)
	v_fmac_f32_e32 v123, 0xbf167918, v225
	v_dual_fmac_f32 v129, 0x3f167918, v225 :: v_dual_add_f32 v128, v117, v138
	s_delay_alu instid0(VALU_DEP_2) | instskip(NEXT) | instid1(VALU_DEP_2)
	v_fmac_f32_e32 v123, 0x3e9e377a, v221
	v_fmac_f32_e32 v129, 0x3e9e377a, v221
	s_delay_alu instid0(VALU_DEP_3) | instskip(NEXT) | instid1(VALU_DEP_1)
	v_fma_f32 v128, -0.5, v128, v124
	v_fmamk_f32 v122, v222, 0x3f737871, v128
	v_fmac_f32_e32 v128, 0xbf737871, v222
	s_delay_alu instid0(VALU_DEP_2) | instskip(NEXT) | instid1(VALU_DEP_2)
	v_fmac_f32_e32 v122, 0x3f167918, v224
	v_fmac_f32_e32 v128, 0xbf167918, v224
	s_delay_alu instid0(VALU_DEP_2) | instskip(NEXT) | instid1(VALU_DEP_2)
	v_fmac_f32_e32 v122, 0x3e9e377a, v202
	v_fmac_f32_e32 v128, 0x3e9e377a, v202
	ds_store_b64 v203, v[122:123] offset:1560
	ds_store_b64 v203, v[128:129] offset:6240
	v_dual_add_f32 v123, v125, v218 :: v_dual_add_f32 v122, v124, v139
	s_delay_alu instid0(VALU_DEP_1) | instskip(SKIP_2) | instid1(VALU_DEP_3)
	v_dual_add_f32 v123, v123, v116 :: v_dual_add_f32 v122, v122, v117
	v_add_f32_e32 v117, v139, v133
	v_sub_f32_e32 v241, v160, v155
	v_dual_add_f32 v123, v123, v201 :: v_dual_add_f32 v122, v122, v138
	v_sub_f32_e32 v239, v158, v220
	s_delay_alu instid0(VALU_DEP_2) | instskip(SKIP_1) | instid1(VALU_DEP_4)
	v_add_f32_e32 v139, v123, v132
	v_add_f32_e32 v123, v218, v132
	;; [unrolled: 1-line block ×3, first 2 shown]
	v_sub_f32_e32 v122, v116, v218
	v_fma_f32 v116, -0.5, v117, v124
	v_sub_f32_e32 v132, v201, v132
	v_fma_f32 v117, -0.5, v123, v125
	v_lshl_add_u32 v218, v136, 3, v142
	s_delay_alu instid0(VALU_DEP_3) | instskip(NEXT) | instid1(VALU_DEP_3)
	v_add_f32_e32 v125, v122, v132
	v_fmamk_f32 v123, v225, 0x3f737871, v117
	v_fmac_f32_e32 v117, 0xbf737871, v225
	s_delay_alu instid0(VALU_DEP_4) | instskip(NEXT) | instid1(VALU_DEP_3)
	v_add_nc_u32_e32 v136, 0x800, v218
	v_fmac_f32_e32 v123, 0xbf167918, v223
	s_delay_alu instid0(VALU_DEP_3) | instskip(SKIP_1) | instid1(VALU_DEP_3)
	v_fmac_f32_e32 v117, 0x3f167918, v223
	v_sub_f32_e32 v253, v146, v148
	v_fmac_f32_e32 v123, 0x3e9e377a, v125
	s_delay_alu instid0(VALU_DEP_3) | instskip(SKIP_4) | instid1(VALU_DEP_4)
	v_fmac_f32_e32 v117, 0x3e9e377a, v125
	v_fmamk_f32 v122, v224, 0xbf737871, v116
	v_fmac_f32_e32 v116, 0x3f737871, v224
	v_add_f32_e32 v124, v226, v227
	v_sub_f32_e32 v245, v150, v166
	v_fmac_f32_e32 v122, 0x3f167918, v222
	s_delay_alu instid0(VALU_DEP_4) | instskip(NEXT) | instid1(VALU_DEP_2)
	v_fmac_f32_e32 v116, 0xbf167918, v222
	v_fmac_f32_e32 v122, 0x3e9e377a, v124
	s_delay_alu instid0(VALU_DEP_2)
	v_fmac_f32_e32 v116, 0x3e9e377a, v124
	ds_store_b64 v203, v[122:123] offset:3120
	ds_store_b64 v203, v[116:117] offset:4680
	v_dual_add_f32 v116, v126, v131 :: v_dual_add_f32 v117, v127, v130
	ds_load_b64 v[128:129], v203 offset:7488
	ds_load_2addr_b64 v[122:125], v203 offset0:78 offset1:117
	v_dual_add_f32 v116, v116, v135 :: v_dual_add_f32 v117, v117, v134
	s_delay_alu instid0(VALU_DEP_1) | instskip(NEXT) | instid1(VALU_DEP_1)
	v_dual_add_f32 v116, v116, v154 :: v_dual_add_f32 v117, v117, v153
	v_dual_add_f32 v116, v116, v140 :: v_dual_add_f32 v117, v117, v137
	ds_store_2addr_b64 v203, v[138:139], v[116:117] offset1:39
	v_add_f32_e32 v116, v135, v154
	s_wait_dscnt 0x2
	v_dual_add_f32 v117, v131, v140 :: v_dual_mul_f32 v234, v128, v99
	s_delay_alu instid0(VALU_DEP_2) | instskip(NEXT) | instid1(VALU_DEP_2)
	v_fma_f32 v221, -0.5, v116, v126
	v_fma_f32 v126, -0.5, v117, v126
	v_dual_sub_f32 v116, v135, v131 :: v_dual_sub_f32 v117, v154, v140
	s_delay_alu instid0(VALU_DEP_4) | instskip(NEXT) | instid1(VALU_DEP_3)
	v_dual_fmac_f32 v234, v129, v98 :: v_dual_sub_f32 v135, v131, v135
	v_fmamk_f32 v223, v229, 0xbf737871, v126
	v_fmac_f32_e32 v126, 0x3f737871, v229
	s_delay_alu instid0(VALU_DEP_4) | instskip(NEXT) | instid1(VALU_DEP_4)
	v_add_f32_e32 v227, v116, v117
	v_sub_f32_e32 v139, v234, v148
	v_add_f32_e32 v116, v134, v153
	v_sub_f32_e32 v117, v153, v137
	v_fmac_f32_e32 v223, 0x3f167918, v231
	v_fmac_f32_e32 v126, 0xbf167918, v231
	s_delay_alu instid0(VALU_DEP_4) | instskip(NEXT) | instid1(VALU_DEP_3)
	v_fma_f32 v222, -0.5, v116, v127
	v_dual_add_f32 v116, v130, v137 :: v_dual_fmac_f32 v223, 0x3e9e377a, v227
	s_delay_alu instid0(VALU_DEP_3) | instskip(NEXT) | instid1(VALU_DEP_2)
	v_dual_fmac_f32 v126, 0x3e9e377a, v227 :: v_dual_sub_f32 v137, v137, v153
	v_dual_fmac_f32 v127, -0.5, v116 :: v_dual_sub_f32 v116, v134, v130
	v_sub_f32_e32 v134, v130, v134
	v_fmamk_f32 v130, v231, 0x3f737871, v221
	v_fmac_f32_e32 v221, 0xbf737871, v231
	s_delay_alu instid0(VALU_DEP_4)
	v_fmamk_f32 v224, v230, 0x3f737871, v127
	v_add_f32_e32 v228, v116, v117
	v_dual_mul_f32 v116, v129, v99 :: v_dual_sub_f32 v117, v219, v162
	v_fmac_f32_e32 v127, 0xbf737871, v230
	v_fmac_f32_e32 v221, 0xbf167918, v229
	v_add_f32_e32 v134, v134, v137
	s_delay_alu instid0(VALU_DEP_4) | instskip(NEXT) | instid1(VALU_DEP_4)
	v_fma_f32 v233, v128, v98, -v116
	v_dual_sub_f32 v116, v159, v165 :: v_dual_fmac_f32 v127, 0x3f167918, v232
	v_dual_fmac_f32 v130, 0x3f167918, v229 :: v_dual_sub_f32 v137, v166, v155
	s_delay_alu instid0(VALU_DEP_2) | instskip(SKIP_1) | instid1(VALU_DEP_4)
	v_dual_add_f32 v235, v116, v117 :: v_dual_add_f32 v116, v165, v162
	v_add_f32_e32 v117, v164, v163
	v_fmac_f32_e32 v127, 0x3e9e377a, v228
	s_wait_dscnt 0x1
	s_delay_alu instid0(VALU_DEP_3) | instskip(NEXT) | instid1(VALU_DEP_3)
	v_fma_f32 v128, -0.5, v116, v122
	v_fma_f32 v129, -0.5, v117, v123
	v_dual_sub_f32 v116, v158, v164 :: v_dual_sub_f32 v117, v220, v163
	ds_store_b64 v203, v[126:127] offset:4992
	v_add_f32_e32 v236, v116, v117
	v_sub_f32_e32 v116, v161, v152
	v_sub_f32_e32 v117, v157, v167
	s_delay_alu instid0(VALU_DEP_1) | instskip(SKIP_1) | instid1(VALU_DEP_1)
	v_add_f32_e32 v237, v116, v117
	v_dual_add_f32 v116, v152, v167 :: v_dual_add_f32 v117, v150, v166
	v_fma_f32 v126, -0.5, v116, v124
	s_delay_alu instid0(VALU_DEP_2) | instskip(SKIP_1) | instid1(VALU_DEP_3)
	v_fma_f32 v127, -0.5, v117, v125
	v_sub_f32_e32 v116, v160, v150
	v_dual_sub_f32 v117, v155, v166 :: v_dual_fmamk_f32 v132, v241, 0x3f737871, v126
	s_delay_alu instid0(VALU_DEP_3) | instskip(NEXT) | instid1(VALU_DEP_2)
	v_dual_fmamk_f32 v133, v242, 0xbf737871, v127 :: v_dual_fmac_f32 v126, 0xbf737871, v241
	v_add_f32_e32 v238, v116, v117
	v_fmamk_f32 v116, v239, 0x3f737871, v128
	v_fmamk_f32 v117, v240, 0xbf737871, v129
	v_fmac_f32_e32 v132, 0x3f167918, v245
	v_fmac_f32_e32 v133, 0xbf167918, v246
	;; [unrolled: 1-line block ×5, first 2 shown]
	s_delay_alu instid0(VALU_DEP_4) | instskip(NEXT) | instid1(VALU_DEP_4)
	v_dual_fmac_f32 v132, 0x3e9e377a, v237 :: v_dual_fmac_f32 v133, 0x3e9e377a, v238
	v_fmac_f32_e32 v128, 0xbf167918, v243
	s_delay_alu instid0(VALU_DEP_3) | instskip(SKIP_1) | instid1(VALU_DEP_3)
	v_dual_fmac_f32 v116, 0x3e9e377a, v235 :: v_dual_fmac_f32 v117, 0x3e9e377a, v236
	v_fmac_f32_e32 v126, 0xbf167918, v245
	v_fmac_f32_e32 v128, 0x3e9e377a, v235
	ds_store_2addr_b64 v136, v[116:117], v[132:133] offset0:17 offset1:56
	v_sub_f32_e32 v116, v165, v159
	v_dual_sub_f32 v117, v162, v219 :: v_dual_fmac_f32 v126, 0x3e9e377a, v237
	s_delay_alu instid0(VALU_DEP_1) | instskip(SKIP_1) | instid1(VALU_DEP_2)
	v_dual_add_f32 v247, v116, v117 :: v_dual_add_f32 v116, v159, v219
	v_add_f32_e32 v117, v158, v220
	v_fma_f32 v201, -0.5, v116, v122
	s_delay_alu instid0(VALU_DEP_2) | instskip(SKIP_2) | instid1(VALU_DEP_4)
	v_fma_f32 v202, -0.5, v117, v123
	v_dual_sub_f32 v116, v164, v158 :: v_dual_sub_f32 v117, v163, v220
	v_add_f32_e32 v123, v123, v158
	v_fmamk_f32 v225, v243, 0xbf737871, v201
	s_delay_alu instid0(VALU_DEP_4) | instskip(NEXT) | instid1(VALU_DEP_4)
	v_dual_fmac_f32 v201, 0x3f737871, v243 :: v_dual_fmamk_f32 v226, v244, 0x3f737871, v202
	v_add_f32_e32 v248, v116, v117
	v_sub_f32_e32 v117, v147, v149
	s_delay_alu instid0(VALU_DEP_4) | instskip(SKIP_2) | instid1(VALU_DEP_3)
	v_fmac_f32_e32 v225, 0x3f167918, v239
	v_dual_fmamk_f32 v131, v232, 0xbf737871, v222 :: v_dual_sub_f32 v138, v233, v151
	v_dual_fmac_f32 v129, 0x3f737871, v240 :: v_dual_add_f32 v116, v149, v151
	v_fmac_f32_e32 v225, 0x3e9e377a, v247
	v_sub_f32_e32 v251, v141, v234
	s_delay_alu instid0(VALU_DEP_4) | instskip(SKIP_4) | instid1(VALU_DEP_4)
	v_add_f32_e32 v249, v117, v138
	v_add_f32_e32 v117, v146, v148
	v_fma_f32 v116, -0.5, v116, v120
	v_dual_sub_f32 v138, v141, v146 :: v_dual_fmac_f32 v201, 0xbf167918, v239
	v_fmac_f32_e32 v131, 0xbf167918, v230
	v_fma_f32 v117, -0.5, v117, v121
	v_sub_f32_e32 v252, v147, v233
	s_delay_alu instid0(VALU_DEP_4) | instskip(SKIP_2) | instid1(VALU_DEP_4)
	v_dual_add_f32 v250, v138, v139 :: v_dual_fmac_f32 v129, 0x3f167918, v244
	v_fmamk_f32 v138, v251, 0x3f737871, v116
	v_add_f32_e32 v123, v123, v164
	v_fmamk_f32 v139, v252, 0xbf737871, v117
	v_fmac_f32_e32 v226, 0xbf167918, v240
	v_fmac_f32_e32 v201, 0x3e9e377a, v247
	s_delay_alu instid0(VALU_DEP_4) | instskip(NEXT) | instid1(VALU_DEP_4)
	v_dual_fmac_f32 v138, 0x3f167918, v253 :: v_dual_add_f32 v123, v123, v163
	v_fmac_f32_e32 v139, 0xbf167918, v254
	s_delay_alu instid0(VALU_DEP_4) | instskip(SKIP_4) | instid1(VALU_DEP_4)
	v_fmac_f32_e32 v226, 0x3e9e377a, v248
	v_fmac_f32_e32 v224, 0xbf167918, v232
	;; [unrolled: 1-line block ×3, first 2 shown]
	v_dual_add_f32 v123, v123, v220 :: v_dual_fmac_f32 v138, 0x3e9e377a, v249
	v_fmac_f32_e32 v129, 0x3e9e377a, v236
	v_dual_fmac_f32 v139, 0x3e9e377a, v250 :: v_dual_fmac_f32 v224, 0x3e9e377a, v228
	s_delay_alu instid0(VALU_DEP_4)
	v_fmac_f32_e32 v222, 0x3f167918, v230
	v_fmac_f32_e32 v131, 0x3e9e377a, v134
	;; [unrolled: 1-line block ×3, first 2 shown]
	ds_store_2addr_b64 v136, v[138:139], v[225:226] offset0:95 offset1:212
	v_sub_f32_e32 v136, v140, v154
	v_fmac_f32_e32 v222, 0x3e9e377a, v134
	v_sub_f32_e32 v134, v167, v157
	v_fmac_f32_e32 v202, 0x3f167918, v240
	s_delay_alu instid0(VALU_DEP_4) | instskip(SKIP_2) | instid1(VALU_DEP_4)
	v_dual_fmac_f32 v116, 0xbf737871, v251 :: v_dual_add_f32 v135, v135, v136
	v_dual_add_f32 v122, v122, v159 :: v_dual_fmac_f32 v127, 0x3f737871, v242
	v_add_f32_e32 v136, v160, v155
	v_fmac_f32_e32 v202, 0x3e9e377a, v248
	s_delay_alu instid0(VALU_DEP_4)
	v_fmac_f32_e32 v130, 0x3e9e377a, v135
	v_fmac_f32_e32 v221, 0x3e9e377a, v135
	ds_store_b64 v203, v[223:224] offset:3432
	v_dual_fmac_f32 v127, 0x3f167918, v246 :: v_dual_add_f32 v122, v122, v165
	ds_store_b64 v203, v[130:131] offset:1872
	v_dual_add_f32 v130, v124, v161 :: v_dual_add_f32 v131, v125, v160
	v_fmac_f32_e32 v127, 0x3e9e377a, v238
	v_add_f32_e32 v122, v122, v162
	v_sub_f32_e32 v135, v150, v160
	s_delay_alu instid0(VALU_DEP_4) | instskip(NEXT) | instid1(VALU_DEP_3)
	v_dual_add_f32 v130, v130, v152 :: v_dual_add_f32 v131, v131, v150
	v_dual_fmac_f32 v125, -0.5, v136 :: v_dual_add_f32 v122, v122, v219
	v_add_f32_e32 v136, v120, v147
	s_delay_alu instid0(VALU_DEP_3) | instskip(SKIP_1) | instid1(VALU_DEP_2)
	v_dual_add_f32 v130, v130, v167 :: v_dual_add_f32 v131, v131, v166
	v_fmac_f32_e32 v116, 0xbf167918, v253
	v_dual_add_f32 v130, v130, v157 :: v_dual_add_f32 v131, v131, v155
	s_delay_alu instid0(VALU_DEP_2) | instskip(SKIP_2) | instid1(VALU_DEP_1)
	v_fmac_f32_e32 v116, 0x3e9e377a, v249
	ds_store_2addr_b64 v203, v[122:123], v[130:131] offset0:78 offset1:117
	v_add_f32_e32 v123, v161, v157
	v_fma_f32 v124, -0.5, v123, v124
	v_add_f32_e32 v123, v135, v137
	v_fmamk_f32 v135, v246, 0x3f737871, v125
	v_dual_fmac_f32 v125, 0xbf737871, v246 :: v_dual_sub_f32 v122, v152, v161
	v_sub_f32_e32 v137, v151, v233
	v_fmac_f32_e32 v117, 0x3f737871, v252
	s_delay_alu instid0(VALU_DEP_4) | instskip(NEXT) | instid1(VALU_DEP_4)
	v_fmac_f32_e32 v135, 0xbf167918, v242
	v_fmac_f32_e32 v125, 0x3f167918, v242
	v_add_f32_e32 v122, v122, v134
	v_fmamk_f32 v134, v245, 0xbf737871, v124
	v_fmac_f32_e32 v124, 0x3f737871, v245
	v_fmac_f32_e32 v135, 0x3e9e377a, v123
	;; [unrolled: 1-line block ×3, first 2 shown]
	s_delay_alu instid0(VALU_DEP_4) | instskip(NEXT) | instid1(VALU_DEP_4)
	v_dual_add_f32 v123, v141, v234 :: v_dual_fmac_f32 v134, 0x3f167918, v241
	v_fmac_f32_e32 v124, 0xbf167918, v241
	v_fmac_f32_e32 v117, 0x3f167918, v254
	s_delay_alu instid0(VALU_DEP_3) | instskip(NEXT) | instid1(VALU_DEP_3)
	v_fmac_f32_e32 v134, 0x3e9e377a, v122
	v_fmac_f32_e32 v124, 0x3e9e377a, v122
	s_delay_alu instid0(VALU_DEP_3) | instskip(NEXT) | instid1(VALU_DEP_1)
	v_dual_add_f32 v122, v147, v233 :: v_dual_fmac_f32 v117, 0x3e9e377a, v250
	v_fma_f32 v120, -0.5, v122, v120
	v_add_f32_e32 v122, v136, v149
	s_delay_alu instid0(VALU_DEP_2) | instskip(NEXT) | instid1(VALU_DEP_2)
	v_fmamk_f32 v140, v253, 0xbf737871, v120
	v_add_f32_e32 v122, v122, v151
	v_fmac_f32_e32 v120, 0x3f737871, v253
	s_delay_alu instid0(VALU_DEP_3) | instskip(NEXT) | instid1(VALU_DEP_3)
	v_fmac_f32_e32 v140, 0x3f167918, v251
	v_add_f32_e32 v136, v122, v233
	v_sub_f32_e32 v122, v149, v147
	s_delay_alu instid0(VALU_DEP_4) | instskip(NEXT) | instid1(VALU_DEP_2)
	v_fmac_f32_e32 v120, 0xbf167918, v251
	v_add_f32_e32 v122, v122, v137
	v_add_f32_e32 v137, v121, v141
	s_delay_alu instid0(VALU_DEP_2) | instskip(NEXT) | instid1(VALU_DEP_2)
	v_dual_fmac_f32 v121, -0.5, v123 :: v_dual_fmac_f32 v140, 0x3e9e377a, v122
	v_dual_add_f32 v123, v137, v146 :: v_dual_sub_f32 v146, v146, v141
	s_delay_alu instid0(VALU_DEP_2) | instskip(SKIP_1) | instid1(VALU_DEP_3)
	v_fmamk_f32 v141, v254, 0x3f737871, v121
	v_fmac_f32_e32 v121, 0xbf737871, v254
	v_dual_fmac_f32 v120, 0x3e9e377a, v122 :: v_dual_add_f32 v123, v123, v148
	v_add_nc_u32_e32 v122, 0x1000, v218
	s_delay_alu instid0(VALU_DEP_4) | instskip(NEXT) | instid1(VALU_DEP_4)
	v_fmac_f32_e32 v141, 0xbf167918, v252
	v_fmac_f32_e32 v121, 0x3f167918, v252
	s_delay_alu instid0(VALU_DEP_4) | instskip(SKIP_3) | instid1(VALU_DEP_1)
	v_add_f32_e32 v137, v123, v234
	v_sub_f32_e32 v123, v148, v234
	ds_store_2addr_b64 v122, v[201:202], v[124:125] offset0:151 offset1:190
	v_dual_add_f32 v123, v146, v123 :: v_dual_add_nc_u32 v122, 0xc00, v218
	v_fmac_f32_e32 v141, 0x3e9e377a, v123
	v_fmac_f32_e32 v121, 0x3e9e377a, v123
	ds_store_b64 v203, v[221:222] offset:6552
	ds_store_2addr_b64 v122, v[134:135], v[140:141] offset0:123 offset1:162
	v_add_nc_u32_e32 v122, 0x1400, v218
	ds_store_2addr_b64 v122, v[120:121], v[128:129] offset0:101 offset1:218
	v_add_nc_u32_e32 v122, 0x1800, v218
	ds_store_2addr_b64 v122, v[126:127], v[116:117] offset0:129 offset1:168
	ds_store_b64 v203, v[136:137] offset:1248
	global_wb scope:SCOPE_SE
	s_wait_dscnt 0x0
	s_barrier_signal -1
	s_barrier_wait -1
	global_inv scope:SCOPE_SE
	global_load_b64 v[122:123], v[168:169], off offset:7800
	ds_load_2addr_b64 v[146:149], v203 offset1:75
	s_clause 0x2
	global_load_b64 v[163:164], v142, s[2:3] offset:3600
	global_load_b64 v[219:220], v142, s[2:3] offset:4800
	;; [unrolled: 1-line block ×3, first 2 shown]
	s_wait_loadcnt_dscnt 0x300
	v_mul_f32_e32 v150, v147, v123
	v_mul_f32_e32 v151, v146, v123
	s_delay_alu instid0(VALU_DEP_2) | instskip(NEXT) | instid1(VALU_DEP_2)
	v_fma_f32 v150, v146, v122, -v150
	v_fmac_f32_e32 v151, v147, v122
	global_load_b64 v[122:123], v142, s[2:3] offset:600
	s_wait_loadcnt 0x0
	v_mul_f32_e32 v146, v149, v123
	v_mul_f32_e32 v153, v148, v123
	s_delay_alu instid0(VALU_DEP_2) | instskip(NEXT) | instid1(VALU_DEP_2)
	v_fma_f32 v152, v148, v122, -v146
	v_fmac_f32_e32 v153, v149, v122
	global_load_b64 v[122:123], v142, s[2:3] offset:1200
	ds_load_2addr_b64 v[146:149], v203 offset0:150 offset1:225
	s_wait_loadcnt_dscnt 0x0
	v_mul_f32_e32 v154, v147, v123
	v_mul_f32_e32 v155, v146, v123
	s_delay_alu instid0(VALU_DEP_2) | instskip(NEXT) | instid1(VALU_DEP_2)
	v_fma_f32 v154, v146, v122, -v154
	v_fmac_f32_e32 v155, v147, v122
	global_load_b64 v[122:123], v142, s[2:3] offset:1800
	s_wait_loadcnt 0x0
	v_mul_f32_e32 v146, v149, v123
	v_mul_f32_e32 v158, v148, v123
	s_delay_alu instid0(VALU_DEP_2) | instskip(NEXT) | instid1(VALU_DEP_2)
	v_fma_f32 v157, v148, v122, -v146
	v_fmac_f32_e32 v158, v149, v122
	global_load_b64 v[122:123], v142, s[2:3] offset:2400
	ds_load_2addr_b64 v[146:149], v143 offset0:44 offset1:119
	s_wait_loadcnt_dscnt 0x0
	v_mul_f32_e32 v159, v147, v123
	v_mul_f32_e32 v160, v146, v123
	s_delay_alu instid0(VALU_DEP_2) | instskip(NEXT) | instid1(VALU_DEP_2)
	v_fma_f32 v159, v146, v122, -v159
	v_fmac_f32_e32 v160, v147, v122
	global_load_b64 v[122:123], v142, s[2:3] offset:3000
	s_wait_loadcnt 0x0
	v_mul_f32_e32 v146, v149, v123
	v_mul_f32_e32 v162, v148, v123
	s_delay_alu instid0(VALU_DEP_2) | instskip(NEXT) | instid1(VALU_DEP_2)
	v_fma_f32 v161, v148, v122, -v146
	v_fmac_f32_e32 v162, v149, v122
	v_add_nc_u32_e32 v122, 0xc00, v203
	ds_load_2addr_b64 v[146:149], v122 offset0:66 offset1:141
	s_wait_dscnt 0x0
	v_mul_f32_e32 v123, v147, v164
	v_mul_f32_e32 v166, v146, v164
	s_delay_alu instid0(VALU_DEP_2) | instskip(NEXT) | instid1(VALU_DEP_2)
	v_fma_f32 v165, v146, v163, -v123
	v_fmac_f32_e32 v166, v147, v163
	global_load_b64 v[146:147], v142, s[2:3] offset:4200
	s_wait_loadcnt 0x0
	v_mul_f32_e32 v123, v149, v147
	v_mul_f32_e32 v164, v148, v147
	s_delay_alu instid0(VALU_DEP_2) | instskip(NEXT) | instid1(VALU_DEP_2)
	v_fma_f32 v163, v148, v146, -v123
	v_fmac_f32_e32 v164, v149, v146
	ds_load_2addr_b64 v[146:149], v156 offset0:88 offset1:163
	s_wait_dscnt 0x0
	v_mul_f32_e32 v123, v147, v220
	v_mul_f32_e32 v222, v146, v220
	s_delay_alu instid0(VALU_DEP_2) | instskip(NEXT) | instid1(VALU_DEP_2)
	v_fma_f32 v221, v146, v219, -v123
	v_fmac_f32_e32 v222, v147, v219
	global_load_b64 v[146:147], v142, s[2:3] offset:5400
	s_wait_loadcnt 0x0
	v_mul_f32_e32 v123, v149, v147
	v_mul_f32_e32 v220, v148, v147
	s_delay_alu instid0(VALU_DEP_2) | instskip(NEXT) | instid1(VALU_DEP_2)
	v_fma_f32 v219, v148, v146, -v123
	v_dual_fmac_f32 v220, v149, v146 :: v_dual_add_nc_u32 v123, 0x1400, v203
	ds_load_2addr_b64 v[146:149], v123 offset0:110 offset1:185
	s_wait_dscnt 0x0
	v_mul_f32_e32 v167, v147, v224
	v_mul_f32_e32 v226, v146, v224
	s_delay_alu instid0(VALU_DEP_2) | instskip(NEXT) | instid1(VALU_DEP_2)
	v_fma_f32 v225, v146, v223, -v167
	v_fmac_f32_e32 v226, v147, v223
	global_load_b64 v[146:147], v142, s[2:3] offset:6600
	s_wait_loadcnt 0x0
	v_mul_f32_e32 v167, v149, v147
	v_mul_f32_e32 v224, v148, v147
	s_delay_alu instid0(VALU_DEP_2) | instskip(NEXT) | instid1(VALU_DEP_2)
	v_fma_f32 v223, v148, v146, -v167
	v_fmac_f32_e32 v224, v149, v146
	global_load_b64 v[146:147], v142, s[2:3] offset:7200
	ds_load_b64 v[148:149], v203 offset:7200
	s_wait_loadcnt_dscnt 0x0
	v_mul_f32_e32 v167, v149, v147
	v_mul_f32_e32 v228, v148, v147
	s_delay_alu instid0(VALU_DEP_2) | instskip(NEXT) | instid1(VALU_DEP_2)
	v_fma_f32 v227, v148, v146, -v167
	v_fmac_f32_e32 v228, v149, v146
	ds_store_2addr_b64 v203, v[150:151], v[152:153] offset1:75
	ds_store_2addr_b64 v203, v[154:155], v[157:158] offset0:150 offset1:225
	ds_store_2addr_b64 v143, v[159:160], v[161:162] offset0:44 offset1:119
	;; [unrolled: 1-line block ×5, first 2 shown]
	ds_store_b64 v203, v[227:228] offset:7200
	s_and_saveexec_b32 s1, vcc_lo
	s_cbranch_execz .LBB0_13
; %bb.12:
	s_wait_alu 0xfffe
	v_add_co_u32 v150, s2, s2, v142
	s_wait_alu 0xf1ff
	v_add_co_ci_u32_e64 v151, null, s3, 0, s2
	s_clause 0xa
	global_load_b64 v[152:153], v[150:151], off offset:312
	global_load_b64 v[154:155], v[150:151], off offset:912
	;; [unrolled: 1-line block ×11, first 2 shown]
	ds_load_2addr_b64 v[146:149], v203 offset0:39 offset1:114
	s_wait_loadcnt_dscnt 0xa00
	v_mul_f32_e32 v142, v147, v153
	s_wait_loadcnt 0x9
	v_dual_mul_f32 v228, v146, v153 :: v_dual_mul_f32 v153, v148, v155
	s_delay_alu instid0(VALU_DEP_2) | instskip(SKIP_1) | instid1(VALU_DEP_3)
	v_fma_f32 v227, v146, v152, -v142
	v_mul_f32_e32 v142, v149, v155
	v_dual_fmac_f32 v153, v149, v154 :: v_dual_fmac_f32 v228, v147, v152
	s_delay_alu instid0(VALU_DEP_2)
	v_fma_f32 v152, v148, v154, -v142
	ds_load_2addr_b64 v[146:149], v145 offset0:61 offset1:136
	s_wait_loadcnt_dscnt 0x800
	v_mul_f32_e32 v142, v147, v158
	s_wait_loadcnt 0x7
	v_dual_mul_f32 v155, v146, v158 :: v_dual_mul_f32 v158, v148, v160
	s_delay_alu instid0(VALU_DEP_2) | instskip(NEXT) | instid1(VALU_DEP_2)
	v_fma_f32 v154, v146, v157, -v142
	v_dual_mul_f32 v142, v149, v160 :: v_dual_fmac_f32 v155, v147, v157
	s_delay_alu instid0(VALU_DEP_3) | instskip(NEXT) | instid1(VALU_DEP_2)
	v_fmac_f32_e32 v158, v149, v159
	v_fma_f32 v157, v148, v159, -v142
	ds_load_2addr_b64 v[146:149], v143 offset0:83 offset1:158
	s_wait_loadcnt_dscnt 0x600
	v_mul_f32_e32 v142, v147, v162
	v_mul_f32_e32 v160, v146, v162
	s_wait_loadcnt 0x5
	v_mul_f32_e32 v162, v148, v164
	s_delay_alu instid0(VALU_DEP_3) | instskip(SKIP_2) | instid1(VALU_DEP_4)
	v_fma_f32 v159, v146, v161, -v142
	v_mul_f32_e32 v142, v149, v164
	v_fmac_f32_e32 v160, v147, v161
	v_fmac_f32_e32 v162, v149, v163
	s_delay_alu instid0(VALU_DEP_3)
	v_fma_f32 v161, v148, v163, -v142
	ds_load_2addr_b64 v[146:149], v122 offset0:105 offset1:180
	s_wait_loadcnt_dscnt 0x400
	v_mul_f32_e32 v142, v147, v166
	v_mul_f32_e32 v164, v146, v166
	s_wait_loadcnt 0x3
	v_mul_f32_e32 v166, v148, v220
	s_delay_alu instid0(VALU_DEP_3) | instskip(SKIP_2) | instid1(VALU_DEP_4)
	v_fma_f32 v163, v146, v165, -v142
	v_mul_f32_e32 v142, v149, v220
	v_fmac_f32_e32 v164, v147, v165
	v_fmac_f32_e32 v166, v149, v219
	s_delay_alu instid0(VALU_DEP_3)
	v_fma_f32 v165, v148, v219, -v142
	ds_load_2addr_b64 v[146:149], v156 offset0:127 offset1:202
	s_wait_loadcnt_dscnt 0x200
	v_mul_f32_e32 v142, v147, v222
	v_mul_f32_e32 v220, v146, v222
	s_wait_loadcnt 0x1
	v_mul_f32_e32 v222, v148, v224
	s_delay_alu instid0(VALU_DEP_3) | instskip(SKIP_2) | instid1(VALU_DEP_4)
	v_fma_f32 v219, v146, v221, -v142
	v_mul_f32_e32 v142, v149, v224
	v_fmac_f32_e32 v220, v147, v221
	v_fmac_f32_e32 v222, v149, v223
	s_delay_alu instid0(VALU_DEP_3) | instskip(SKIP_4) | instid1(VALU_DEP_2)
	v_fma_f32 v221, v148, v223, -v142
	ds_load_2addr_b64 v[146:149], v144 offset0:21 offset1:96
	s_wait_loadcnt_dscnt 0x0
	v_mul_f32_e32 v142, v147, v226
	v_mul_f32_e32 v224, v146, v226
	v_fma_f32 v223, v146, v225, -v142
	s_delay_alu instid0(VALU_DEP_2) | instskip(SKIP_4) | instid1(VALU_DEP_2)
	v_fmac_f32_e32 v224, v147, v225
	global_load_b64 v[146:147], v[150:151], off offset:6912
	s_wait_loadcnt 0x0
	v_mul_f32_e32 v142, v149, v147
	v_mul_f32_e32 v226, v148, v147
	v_fma_f32 v225, v148, v146, -v142
	s_delay_alu instid0(VALU_DEP_2)
	v_fmac_f32_e32 v226, v149, v146
	global_load_b64 v[146:147], v[150:151], off offset:7512
	ds_load_b64 v[148:149], v203 offset:7512
	s_wait_loadcnt_dscnt 0x0
	v_mul_f32_e32 v142, v149, v147
	v_mul_f32_e32 v151, v148, v147
	s_delay_alu instid0(VALU_DEP_2) | instskip(NEXT) | instid1(VALU_DEP_2)
	v_fma_f32 v150, v148, v146, -v142
	v_fmac_f32_e32 v151, v149, v146
	ds_store_2addr_b64 v203, v[227:228], v[152:153] offset0:39 offset1:114
	ds_store_2addr_b64 v145, v[154:155], v[157:158] offset0:61 offset1:136
	;; [unrolled: 1-line block ×6, first 2 shown]
	ds_store_b64 v203, v[150:151] offset:7512
.LBB0_13:
	s_wait_alu 0xfffe
	s_or_b32 exec_lo, exec_lo, s1
	global_wb scope:SCOPE_SE
	s_wait_dscnt 0x0
	s_barrier_signal -1
	s_barrier_wait -1
	global_inv scope:SCOPE_SE
	ds_load_2addr_b64 v[148:151], v203 offset1:75
	ds_load_2addr_b64 v[152:155], v203 offset0:150 offset1:225
	ds_load_2addr_b64 v[164:167], v143 offset0:44 offset1:119
	ds_load_2addr_b64 v[144:147], v122 offset0:66 offset1:141
	ds_load_2addr_b64 v[160:163], v156 offset0:88 offset1:163
	ds_load_2addr_b64 v[156:159], v123 offset0:110 offset1:185
	ds_load_b64 v[122:123], v203 offset:7200
	s_and_saveexec_b32 s1, vcc_lo
	s_cbranch_execz .LBB0_15
; %bb.14:
	v_lshl_add_u32 v116, v187, 3, v204
	s_delay_alu instid0(VALU_DEP_1)
	v_add_nc_u32_e32 v117, 0x1400, v116
	v_add_nc_u32_e32 v119, 0x1800, v116
	ds_load_2addr_b64 v[140:143], v117 offset0:74 offset1:149
	v_add_nc_u32_e32 v118, 0x800, v116
	v_add_nc_u32_e32 v117, 0x1000, v116
	s_wait_dscnt 0x0
	v_mov_b32_e32 v121, v143
	ds_load_2addr_b64 v[124:127], v118 offset0:158 offset1:233
	ds_load_b64 v[201:202], v203 offset:312
	ds_load_2addr_b64 v[128:131], v116 offset0:114 offset1:189
	ds_load_2addr_b64 v[132:135], v118 offset0:8 offset1:83
	;; [unrolled: 1-line block ×4, first 2 shown]
	v_mov_b32_e32 v120, v142
.LBB0_15:
	s_wait_alu 0xfffe
	s_or_b32 exec_lo, exec_lo, s1
	s_wait_dscnt 0x6
	v_dual_add_f32 v142, v148, v150 :: v_dual_add_f32 v143, v149, v151
	s_wait_dscnt 0x2
	v_dual_sub_f32 v219, v165, v163 :: v_dual_add_f32 v220, v163, v165
	s_delay_alu instid0(VALU_DEP_2) | instskip(NEXT) | instid1(VALU_DEP_3)
	v_dual_sub_f32 v221, v167, v161 :: v_dual_add_f32 v142, v142, v152
	v_add_f32_e32 v143, v143, v153
	global_wb scope:SCOPE_SE
	s_wait_dscnt 0x0
	s_barrier_signal -1
	s_barrier_wait -1
	v_dual_add_f32 v142, v142, v154 :: v_dual_add_f32 v143, v143, v155
	global_inv scope:SCOPE_SE
	v_dual_add_f32 v142, v142, v164 :: v_dual_add_f32 v143, v143, v165
	s_delay_alu instid0(VALU_DEP_1) | instskip(SKIP_3) | instid1(VALU_DEP_4)
	v_dual_add_f32 v222, v142, v166 :: v_dual_add_f32 v223, v143, v167
	v_dual_add_f32 v142, v162, v164 :: v_dual_sub_f32 v143, v164, v162
	v_dual_add_f32 v164, v160, v166 :: v_dual_add_f32 v167, v161, v167
	v_sub_f32_e32 v165, v166, v160
	v_add_f32_e32 v166, v222, v144
	v_add_f32_e32 v222, v223, v145
	v_mul_f32_e32 v251, 0x3f7e222b, v221
	v_mul_f32_e32 v249, 0x3f29c268, v219
	v_dual_mul_f32 v209, 0x3e750f2a, v221 :: v_dual_mul_f32 v176, 0x3e750f2a, v219
	s_delay_alu instid0(VALU_DEP_4)
	v_add_f32_e32 v222, v222, v147
	v_mul_f32_e32 v208, 0x3df6dbef, v220
	v_mul_f32_e32 v250, 0xbf3f9e67, v220
	;; [unrolled: 1-line block ×3, first 2 shown]
	v_fmamk_f32 v177, v142, 0xbf788fa5, v176
	v_dual_add_f32 v161, v222, v161 :: v_dual_sub_f32 v222, v153, v159
	v_add_f32_e32 v166, v166, v146
	v_mul_f32_e32 v214, 0x3f116cb1, v167
	s_delay_alu instid0(VALU_DEP_3) | instskip(NEXT) | instid1(VALU_DEP_3)
	v_dual_mul_f32 v178, 0x3eedf032, v221 :: v_dual_add_f32 v161, v161, v163
	v_dual_sub_f32 v163, v155, v157 :: v_dual_add_f32 v160, v166, v160
	v_dual_add_f32 v166, v159, v153 :: v_dual_sub_f32 v153, v152, v158
	v_mul_f32_e32 v255, 0xbe750f2a, v222
	v_mul_f32_e32 v172, 0x3f7e222b, v222
	s_delay_alu instid0(VALU_DEP_4) | instskip(SKIP_3) | instid1(VALU_DEP_4)
	v_dual_add_f32 v223, v160, v162 :: v_dual_add_f32 v160, v158, v152
	v_add_f32_e32 v152, v156, v154
	v_add_f32_e32 v162, v157, v155
	v_sub_f32_e32 v154, v154, v156
	v_add_f32_e32 v155, v223, v156
	s_delay_alu instid0(VALU_DEP_1) | instskip(SKIP_2) | instid1(VALU_DEP_2)
	v_add_f32_e32 v226, v155, v158
	v_dual_sub_f32 v155, v151, v123 :: v_dual_add_f32 v156, v161, v157
	v_add_f32_e32 v151, v123, v151
	v_mul_f32_e32 v157, 0xbeedf032, v155
	s_delay_alu instid0(VALU_DEP_3) | instskip(SKIP_3) | instid1(VALU_DEP_4)
	v_dual_add_f32 v227, v156, v159 :: v_dual_add_f32 v156, v122, v150
	v_mul_f32_e32 v223, 0xbf7e222b, v155
	v_mul_f32_e32 v159, 0xbf52af12, v155
	v_dual_mul_f32 v225, 0xbf6f5d39, v155 :: v_dual_sub_f32 v150, v150, v122
	v_fmamk_f32 v158, v156, 0x3f62ad3f, v157
	s_delay_alu instid0(VALU_DEP_4)
	v_dual_fmamk_f32 v224, v156, 0x3df6dbef, v223 :: v_dual_mul_f32 v235, 0x3df6dbef, v151
	v_mul_f32_e32 v228, 0xbf29c268, v155
	v_mul_f32_e32 v155, 0xbe750f2a, v155
	v_fma_f32 v157, 0x3f62ad3f, v156, -v157
	v_mul_f32_e32 v233, 0x3f116cb1, v151
	v_fmamk_f32 v236, v150, 0x3f7e222b, v235
	v_fmamk_f32 v161, v156, 0x3f116cb1, v159
	;; [unrolled: 1-line block ×3, first 2 shown]
	v_fma_f32 v232, 0xbf788fa5, v156, -v155
	v_mul_f32_e32 v155, 0x3f62ad3f, v151
	v_fma_f32 v159, 0x3f116cb1, v156, -v159
	v_fma_f32 v223, 0x3df6dbef, v156, -v223
	v_fmamk_f32 v234, v150, 0x3f52af12, v233
	v_fmamk_f32 v229, v156, 0xbeb58ec6, v225
	v_fma_f32 v225, 0xbeb58ec6, v156, -v225
	v_mul_f32_e32 v238, 0xbf3f9e67, v151
	v_dual_mul_f32 v239, 0xbf788fa5, v151 :: v_dual_add_f32 v226, v226, v122
	v_add_f32_e32 v243, v148, v158
	v_fmamk_f32 v230, v156, 0xbf3f9e67, v228
	v_fma_f32 v228, 0xbf3f9e67, v156, -v228
	v_dual_fmamk_f32 v156, v150, 0x3eedf032, v155 :: v_dual_add_f32 v245, v148, v161
	v_dual_fmac_f32 v155, 0xbeedf032, v150 :: v_dual_add_f32 v158, v148, v159
	v_mul_f32_e32 v237, 0xbeb58ec6, v151
	v_fmac_f32_e32 v233, 0xbf52af12, v150
	v_fmac_f32_e32 v235, 0xbf7e222b, v150
	v_fmamk_f32 v241, v150, 0x3f29c268, v238
	v_fmamk_f32 v242, v150, 0x3e750f2a, v239
	v_dual_fmac_f32 v239, 0xbe750f2a, v150 :: v_dual_add_f32 v122, v146, v144
	v_dual_add_f32 v151, v149, v155 :: v_dual_add_f32 v230, v148, v230
	v_fmamk_f32 v240, v150, 0x3f6f5d39, v237
	v_fmac_f32_e32 v237, 0xbf6f5d39, v150
	v_fmac_f32_e32 v238, 0xbf29c268, v150
	v_add_f32_e32 v244, v149, v156
	v_add_f32_e32 v150, v148, v157
	v_dual_add_f32 v156, v148, v223 :: v_dual_add_f32 v157, v149, v233
	v_dual_add_f32 v234, v149, v234 :: v_dual_add_f32 v233, v148, v224
	v_dual_add_f32 v236, v149, v236 :: v_dual_add_f32 v229, v148, v229
	v_add_f32_e32 v224, v148, v225
	v_add_f32_e32 v161, v148, v228
	v_add_f32_e32 v228, v148, v231
	v_dual_add_f32 v225, v148, v232 :: v_dual_add_f32 v148, v149, v239
	v_add_f32_e32 v223, v149, v237
	v_add_f32_e32 v227, v227, v123
	;; [unrolled: 1-line block ×4, first 2 shown]
	v_sub_f32_e32 v123, v144, v146
	v_dual_mul_f32 v144, 0xbf52af12, v222 :: v_dual_add_f32 v155, v149, v235
	v_add_f32_e32 v235, v149, v240
	v_dual_add_f32 v159, v149, v238 :: v_dual_mul_f32 v238, 0xbf7e222b, v163
	v_add_f32_e32 v231, v149, v242
	v_sub_f32_e32 v149, v145, v147
	v_fmamk_f32 v145, v160, 0x3f116cb1, v144
	s_delay_alu instid0(VALU_DEP_4) | instskip(SKIP_2) | instid1(VALU_DEP_4)
	v_dual_mul_f32 v252, 0x3df6dbef, v167 :: v_dual_fmamk_f32 v239, v152, 0x3df6dbef, v238
	v_mul_f32_e32 v254, 0x3f62ad3f, v232
	v_mul_f32_e32 v188, 0xbeb58ec6, v162
	v_dual_add_f32 v146, v145, v243 :: v_dual_mul_f32 v145, 0x3f116cb1, v166
	v_mul_f32_e32 v211, 0x3eedf032, v219
	v_mul_f32_e32 v174, 0x3f116cb1, v162
	v_mul_f32_e32 v206, 0x3f62ad3f, v162
	s_delay_alu instid0(VALU_DEP_4) | instskip(SKIP_3) | instid1(VALU_DEP_4)
	v_dual_add_f32 v146, v239, v146 :: v_dual_fmamk_f32 v147, v153, 0x3f52af12, v145
	v_mul_f32_e32 v239, 0x3df6dbef, v162
	v_fmamk_f32 v173, v160, 0x3df6dbef, v172
	v_fmamk_f32 v175, v154, 0x3f52af12, v174
	v_dual_mul_f32 v210, 0xbf788fa5, v167 :: v_dual_add_f32 v147, v147, v244
	s_delay_alu instid0(VALU_DEP_4)
	v_fmamk_f32 v240, v154, 0x3f7e222b, v239
	v_fma_f32 v144, 0x3f116cb1, v160, -v144
	v_add_f32_e32 v173, v173, v230
	v_mul_f32_e32 v230, 0x3df6dbef, v166
	v_mul_f32_e32 v207, 0xbf7e222b, v219
	v_add_f32_e32 v147, v240, v147
	v_mul_f32_e32 v240, 0xbf6f5d39, v219
	v_fmamk_f32 v179, v164, 0x3f62ad3f, v178
	v_add_f32_e32 v144, v144, v150
	v_fmac_f32_e32 v174, 0xbf52af12, v154
	v_sub_f32_e32 v150, v134, v140
	v_fmamk_f32 v241, v142, 0xbeb58ec6, v240
	s_delay_alu instid0(VALU_DEP_1) | instskip(NEXT) | instid1(VALU_DEP_1)
	v_dual_add_f32 v146, v241, v146 :: v_dual_mul_f32 v241, 0xbeb58ec6, v220
	v_fmamk_f32 v242, v143, 0x3f6f5d39, v241
	v_mul_f32_e32 v215, 0xbf29c268, v149
	v_mul_f32_e32 v253, 0x3eedf032, v149
	;; [unrolled: 1-line block ×3, first 2 shown]
	s_delay_alu instid0(VALU_DEP_4) | instskip(SKIP_1) | instid1(VALU_DEP_3)
	v_dual_mul_f32 v180, 0xbf6f5d39, v149 :: v_dual_add_f32 v147, v242, v147
	v_mul_f32_e32 v242, 0xbf29c268, v221
	v_fmamk_f32 v171, v122, 0x3f116cb1, v170
	v_mul_f32_e32 v213, 0xbf52af12, v221
	s_delay_alu instid0(VALU_DEP_4) | instskip(NEXT) | instid1(VALU_DEP_4)
	v_fmamk_f32 v181, v122, 0xbeb58ec6, v180
	v_fmamk_f32 v243, v164, 0xbf3f9e67, v242
	s_delay_alu instid0(VALU_DEP_1) | instskip(NEXT) | instid1(VALU_DEP_1)
	v_dual_add_f32 v146, v243, v146 :: v_dual_mul_f32 v243, 0xbf3f9e67, v167
	v_fmamk_f32 v244, v165, 0x3f29c268, v243
	v_fmac_f32_e32 v243, 0xbf29c268, v165
	s_delay_alu instid0(VALU_DEP_2) | instskip(SKIP_1) | instid1(VALU_DEP_2)
	v_dual_add_f32 v147, v244, v147 :: v_dual_mul_f32 v244, 0xbe750f2a, v149
	v_mul_f32_e32 v149, 0x3f7e222b, v149
	v_fmamk_f32 v246, v122, 0xbf788fa5, v244
	s_delay_alu instid0(VALU_DEP_1) | instskip(SKIP_1) | instid1(VALU_DEP_1)
	v_add_f32_e32 v146, v246, v146
	v_mul_f32_e32 v246, 0xbf788fa5, v232
	v_fmamk_f32 v247, v123, 0x3e750f2a, v246
	s_delay_alu instid0(VALU_DEP_1) | instskip(SKIP_4) | instid1(VALU_DEP_1)
	v_add_f32_e32 v147, v247, v147
	v_mul_f32_e32 v247, 0xbf6f5d39, v222
	v_fmac_f32_e32 v246, 0xbe750f2a, v123
	ds_store_2addr_b64 v217, v[226:227], v[146:147] offset1:1
	v_fmamk_f32 v146, v160, 0xbeb58ec6, v247
	v_dual_add_f32 v146, v146, v245 :: v_dual_mul_f32 v245, 0xbeb58ec6, v166
	v_fmac_f32_e32 v145, 0xbf52af12, v153
	s_delay_alu instid0(VALU_DEP_2) | instskip(NEXT) | instid1(VALU_DEP_2)
	v_fmamk_f32 v147, v153, 0x3f6f5d39, v245
	v_add_f32_e32 v145, v145, v151
	v_sub_f32_e32 v151, v124, v138
	s_delay_alu instid0(VALU_DEP_3) | instskip(SKIP_2) | instid1(VALU_DEP_3)
	v_dual_add_f32 v147, v147, v234 :: v_dual_mul_f32 v234, 0xbe750f2a, v163
	v_mul_f32_e32 v248, 0xbf788fa5, v162
	v_mul_f32_e32 v162, 0xbf3f9e67, v162
	v_fmamk_f32 v226, v152, 0xbf788fa5, v234
	s_delay_alu instid0(VALU_DEP_1) | instskip(NEXT) | instid1(VALU_DEP_4)
	v_add_f32_e32 v146, v226, v146
	v_fmamk_f32 v226, v154, 0x3e750f2a, v248
	s_delay_alu instid0(VALU_DEP_1) | instskip(SKIP_2) | instid1(VALU_DEP_2)
	v_add_f32_e32 v147, v226, v147
	v_fmamk_f32 v226, v142, 0xbf3f9e67, v249
	v_fmac_f32_e32 v248, 0xbe750f2a, v154
	v_add_f32_e32 v146, v226, v146
	v_fmamk_f32 v226, v143, 0xbf29c268, v250
	v_fmac_f32_e32 v250, 0x3f29c268, v143
	v_fmac_f32_e32 v241, 0xbf6f5d39, v143
	s_delay_alu instid0(VALU_DEP_3) | instskip(SKIP_1) | instid1(VALU_DEP_2)
	v_dual_add_f32 v147, v226, v147 :: v_dual_fmamk_f32 v226, v164, 0x3df6dbef, v251
	v_fmac_f32_e32 v239, 0xbf7e222b, v154
	v_add_f32_e32 v146, v226, v146
	v_fmamk_f32 v226, v165, 0xbf7e222b, v252
	s_delay_alu instid0(VALU_DEP_1) | instskip(SKIP_1) | instid1(VALU_DEP_1)
	v_add_f32_e32 v147, v226, v147
	v_fmamk_f32 v226, v122, 0x3f62ad3f, v253
	v_add_f32_e32 v146, v226, v146
	v_fmamk_f32 v226, v123, 0xbeedf032, v254
	v_fmac_f32_e32 v254, 0x3eedf032, v123
	s_delay_alu instid0(VALU_DEP_2) | instskip(NEXT) | instid1(VALU_DEP_1)
	v_dual_add_f32 v147, v226, v147 :: v_dual_fmamk_f32 v226, v160, 0xbf788fa5, v255
	v_dual_add_f32 v226, v226, v233 :: v_dual_mul_f32 v233, 0xbf788fa5, v166
	s_delay_alu instid0(VALU_DEP_1) | instskip(SKIP_1) | instid1(VALU_DEP_2)
	v_fmamk_f32 v227, v153, 0x3e750f2a, v233
	v_fmac_f32_e32 v233, 0xbe750f2a, v153
	v_dual_add_f32 v227, v227, v236 :: v_dual_mul_f32 v236, 0x3f6f5d39, v163
	v_fmac_f32_e32 v252, 0x3f7e222b, v165
	s_delay_alu instid0(VALU_DEP_2) | instskip(NEXT) | instid1(VALU_DEP_1)
	v_fmamk_f32 v205, v152, 0xbeb58ec6, v236
	v_dual_add_f32 v205, v205, v226 :: v_dual_fmamk_f32 v226, v154, 0xbf6f5d39, v188
	v_fmac_f32_e32 v188, 0x3f6f5d39, v154
	s_delay_alu instid0(VALU_DEP_2) | instskip(SKIP_1) | instid1(VALU_DEP_1)
	v_add_f32_e32 v226, v226, v227
	v_fmamk_f32 v227, v142, 0x3f62ad3f, v211
	v_add_f32_e32 v205, v227, v205
	v_fmamk_f32 v227, v143, 0xbeedf032, v212
	v_fmac_f32_e32 v212, 0x3eedf032, v143
	s_delay_alu instid0(VALU_DEP_2) | instskip(NEXT) | instid1(VALU_DEP_1)
	v_dual_add_f32 v226, v227, v226 :: v_dual_fmamk_f32 v227, v164, 0x3f116cb1, v213
	v_add_f32_e32 v205, v227, v205
	v_fmamk_f32 v227, v165, 0x3f52af12, v214
	s_delay_alu instid0(VALU_DEP_1) | instskip(SKIP_1) | instid1(VALU_DEP_1)
	v_dual_fmac_f32 v214, 0xbf52af12, v165 :: v_dual_add_f32 v227, v227, v226
	v_fmamk_f32 v226, v122, 0xbf3f9e67, v215
	v_dual_add_f32 v226, v226, v205 :: v_dual_mul_f32 v205, 0xbf3f9e67, v232
	s_delay_alu instid0(VALU_DEP_1) | instskip(NEXT) | instid1(VALU_DEP_1)
	v_fmamk_f32 v216, v123, 0x3f29c268, v205
	v_dual_add_f32 v227, v216, v227 :: v_dual_mul_f32 v216, 0x3f29c268, v222
	ds_store_2addr_b64 v217, v[146:147], v[226:227] offset0:2 offset1:3
	v_fmamk_f32 v146, v160, 0xbf3f9e67, v216
	s_delay_alu instid0(VALU_DEP_1) | instskip(SKIP_2) | instid1(VALU_DEP_2)
	v_dual_fmac_f32 v205, 0xbf29c268, v123 :: v_dual_add_f32 v146, v146, v229
	v_mul_f32_e32 v229, 0xbf3f9e67, v166
	v_mul_f32_e32 v166, 0x3f62ad3f, v166
	v_fmamk_f32 v147, v153, 0xbf29c268, v229
	s_delay_alu instid0(VALU_DEP_1) | instskip(SKIP_1) | instid1(VALU_DEP_1)
	v_add_f32_e32 v147, v147, v235
	v_mul_f32_e32 v235, 0x3eedf032, v163
	v_fmamk_f32 v226, v152, 0x3f62ad3f, v235
	s_delay_alu instid0(VALU_DEP_1) | instskip(SKIP_1) | instid1(VALU_DEP_1)
	v_add_f32_e32 v146, v226, v146
	v_fmamk_f32 v226, v154, 0xbeedf032, v206
	v_add_f32_e32 v147, v226, v147
	v_fmamk_f32 v226, v142, 0x3df6dbef, v207
	s_delay_alu instid0(VALU_DEP_1) | instskip(SKIP_1) | instid1(VALU_DEP_1)
	v_add_f32_e32 v146, v226, v146
	v_fmamk_f32 v226, v143, 0x3f7e222b, v208
	v_dual_add_f32 v147, v226, v147 :: v_dual_fmamk_f32 v226, v164, 0xbf788fa5, v209
	v_fmac_f32_e32 v206, 0x3eedf032, v154
	s_delay_alu instid0(VALU_DEP_2) | instskip(SKIP_1) | instid1(VALU_DEP_2)
	v_add_f32_e32 v146, v226, v146
	v_fmamk_f32 v226, v165, 0xbe750f2a, v210
	v_dual_add_f32 v146, v171, v146 :: v_dual_mul_f32 v171, 0x3f116cb1, v232
	s_delay_alu instid0(VALU_DEP_2) | instskip(SKIP_1) | instid1(VALU_DEP_3)
	v_add_f32_e32 v147, v226, v147
	v_fmac_f32_e32 v208, 0xbf7e222b, v143
	v_fmamk_f32 v226, v123, 0xbf52af12, v171
	s_delay_alu instid0(VALU_DEP_1) | instskip(SKIP_1) | instid1(VALU_DEP_2)
	v_dual_add_f32 v147, v226, v147 :: v_dual_fmamk_f32 v226, v153, 0xbf7e222b, v230
	v_fmac_f32_e32 v230, 0x3f7e222b, v153
	v_dual_add_f32 v226, v226, v237 :: v_dual_mul_f32 v237, 0xbf52af12, v163
	v_mul_f32_e32 v163, 0xbf29c268, v163
	s_delay_alu instid0(VALU_DEP_2) | instskip(NEXT) | instid1(VALU_DEP_3)
	v_add_f32_e32 v175, v175, v226
	v_fmamk_f32 v227, v152, 0x3f116cb1, v237
	v_fmac_f32_e32 v210, 0x3e750f2a, v165
	s_delay_alu instid0(VALU_DEP_2) | instskip(NEXT) | instid1(VALU_DEP_1)
	v_add_f32_e32 v173, v227, v173
	v_add_f32_e32 v173, v177, v173
	v_mul_f32_e32 v177, 0xbf788fa5, v220
	s_delay_alu instid0(VALU_DEP_2) | instskip(NEXT) | instid1(VALU_DEP_2)
	v_add_f32_e32 v173, v179, v173
	v_fmamk_f32 v226, v143, 0xbe750f2a, v177
	v_mul_f32_e32 v179, 0x3f62ad3f, v167
	v_mul_f32_e32 v167, 0xbeb58ec6, v167
	v_fmac_f32_e32 v177, 0x3e750f2a, v143
	s_delay_alu instid0(VALU_DEP_3) | instskip(NEXT) | instid1(VALU_DEP_1)
	v_dual_add_f32 v175, v226, v175 :: v_dual_fmamk_f32 v226, v165, 0xbeedf032, v179
	v_dual_add_f32 v175, v226, v175 :: v_dual_add_f32 v226, v181, v173
	v_mul_f32_e32 v173, 0xbeb58ec6, v232
	s_delay_alu instid0(VALU_DEP_1) | instskip(NEXT) | instid1(VALU_DEP_1)
	v_fmamk_f32 v181, v123, 0x3f6f5d39, v173
	v_add_f32_e32 v227, v181, v175
	v_mul_f32_e32 v175, 0x3eedf032, v222
	v_fmamk_f32 v181, v152, 0xbf3f9e67, v163
	v_fmamk_f32 v222, v122, 0x3df6dbef, v149
	ds_store_2addr_b64 v217, v[146:147], v[226:227] offset0:4 offset1:5
	v_fmamk_f32 v147, v153, 0xbeedf032, v166
	v_fmac_f32_e32 v166, 0x3eedf032, v153
	v_fmamk_f32 v146, v160, 0x3f62ad3f, v175
	v_fma_f32 v175, 0x3f62ad3f, v160, -v175
	v_dual_fmac_f32 v179, 0x3eedf032, v165 :: v_dual_add_f32 v226, v141, v135
	s_delay_alu instid0(VALU_DEP_4) | instskip(NEXT) | instid1(VALU_DEP_3)
	v_add_f32_e32 v148, v166, v148
	v_dual_add_f32 v146, v146, v228 :: v_dual_add_f32 v175, v175, v225
	v_add_f32_e32 v225, v137, v127
	s_delay_alu instid0(VALU_DEP_4) | instskip(NEXT) | instid1(VALU_DEP_3)
	v_dual_add_f32 v227, v139, v125 :: v_dual_mul_f32 v166, 0xbeb58ec6, v226
	v_dual_add_f32 v146, v181, v146 :: v_dual_fmamk_f32 v181, v154, 0x3f29c268, v162
	v_fmac_f32_e32 v162, 0xbf29c268, v154
	v_fma_f32 v163, 0xbf3f9e67, v152, -v163
	s_delay_alu instid0(VALU_DEP_2) | instskip(SKIP_1) | instid1(VALU_DEP_3)
	v_dual_fmac_f32 v171, 0x3f52af12, v123 :: v_dual_add_f32 v148, v162, v148
	v_add_f32_e32 v147, v147, v231
	v_add_f32_e32 v163, v163, v175
	s_delay_alu instid0(VALU_DEP_2) | instskip(SKIP_1) | instid1(VALU_DEP_1)
	v_add_f32_e32 v147, v181, v147
	v_mul_f32_e32 v181, 0x3f52af12, v219
	v_fmamk_f32 v219, v142, 0x3f116cb1, v181
	v_fma_f32 v162, 0x3f116cb1, v142, -v181
	s_delay_alu instid0(VALU_DEP_2) | instskip(NEXT) | instid1(VALU_DEP_2)
	v_dual_add_f32 v146, v219, v146 :: v_dual_mul_f32 v219, 0x3f116cb1, v220
	v_add_f32_e32 v162, v162, v163
	s_delay_alu instid0(VALU_DEP_2) | instskip(SKIP_1) | instid1(VALU_DEP_2)
	v_fmamk_f32 v220, v143, 0xbf52af12, v219
	v_fmac_f32_e32 v219, 0x3f52af12, v143
	v_dual_add_f32 v147, v220, v147 :: v_dual_mul_f32 v220, 0xbf6f5d39, v221
	s_delay_alu instid0(VALU_DEP_1) | instskip(NEXT) | instid1(VALU_DEP_1)
	v_dual_add_f32 v148, v219, v148 :: v_dual_fmamk_f32 v221, v164, 0xbeb58ec6, v220
	v_add_f32_e32 v146, v221, v146
	v_fmamk_f32 v221, v165, 0x3f6f5d39, v167
	v_fmac_f32_e32 v167, 0xbf6f5d39, v165
	s_delay_alu instid0(VALU_DEP_3) | instskip(NEXT) | instid1(VALU_DEP_3)
	v_dual_mul_f32 v165, 0xbf3f9e67, v227 :: v_dual_add_f32 v146, v222, v146
	v_add_f32_e32 v147, v221, v147
	v_mul_f32_e32 v221, 0x3df6dbef, v232
	v_fmac_f32_e32 v173, 0xbf6f5d39, v123
	s_delay_alu instid0(VALU_DEP_2) | instskip(SKIP_1) | instid1(VALU_DEP_2)
	v_fmamk_f32 v222, v123, 0xbf7e222b, v221
	v_fmac_f32_e32 v221, 0x3f7e222b, v123
	v_add_f32_e32 v147, v222, v147
	v_fma_f32 v163, 0xbeb58ec6, v164, -v220
	v_add_f32_e32 v220, v119, v129
	v_add_f32_e32 v222, v117, v131
	s_delay_alu instid0(VALU_DEP_3) | instskip(SKIP_4) | instid1(VALU_DEP_3)
	v_add_f32_e32 v162, v163, v162
	v_add_f32_e32 v163, v167, v148
	v_fma_f32 v148, 0x3df6dbef, v122, -v149
	v_mul_f32_e32 v167, 0xbf788fa5, v225
	v_sub_f32_e32 v219, v135, v141
	v_dual_add_f32 v149, v221, v163 :: v_dual_add_f32 v148, v148, v162
	v_sub_f32_e32 v163, v129, v119
	v_sub_f32_e32 v221, v125, v139
	ds_store_2addr_b64 v217, v[146:147], v[148:149] offset0:6 offset1:7
	v_fma_f32 v146, 0xbf3f9e67, v160, -v216
	v_fma_f32 v148, 0x3f62ad3f, v152, -v235
	v_add_f32_e32 v149, v230, v159
	v_fma_f32 v159, 0x3f116cb1, v152, -v237
	v_mul_f32_e32 v154, 0xbeedf032, v163
	v_add_f32_e32 v146, v146, v224
	v_sub_f32_e32 v224, v127, v137
	s_delay_alu instid0(VALU_DEP_2) | instskip(SKIP_1) | instid1(VALU_DEP_1)
	v_dual_add_f32 v149, v174, v149 :: v_dual_add_f32 v146, v148, v146
	v_fma_f32 v148, 0x3df6dbef, v142, -v207
	v_dual_add_f32 v149, v177, v149 :: v_dual_add_f32 v146, v148, v146
	v_fma_f32 v148, 0xbf788fa5, v164, -v209
	s_delay_alu instid0(VALU_DEP_1) | instskip(SKIP_1) | instid1(VALU_DEP_1)
	v_dual_add_f32 v149, v179, v149 :: v_dual_add_f32 v146, v148, v146
	v_fma_f32 v148, 0x3f116cb1, v122, -v170
	v_dual_add_f32 v149, v173, v149 :: v_dual_add_f32 v146, v148, v146
	v_fma_f32 v148, 0x3df6dbef, v160, -v172
	s_delay_alu instid0(VALU_DEP_1) | instskip(NEXT) | instid1(VALU_DEP_1)
	v_dual_add_f32 v148, v148, v161 :: v_dual_mul_f32 v161, 0xbe750f2a, v224
	v_add_f32_e32 v148, v159, v148
	v_fma_f32 v159, 0xbf788fa5, v142, -v176
	s_delay_alu instid0(VALU_DEP_1) | instskip(SKIP_1) | instid1(VALU_DEP_1)
	v_add_f32_e32 v148, v159, v148
	v_fma_f32 v159, 0x3f62ad3f, v164, -v178
	v_add_f32_e32 v148, v159, v148
	v_fma_f32 v159, 0xbeb58ec6, v122, -v180
	s_delay_alu instid0(VALU_DEP_1) | instskip(NEXT) | instid1(VALU_DEP_1)
	v_dual_fmac_f32 v229, 0x3f29c268, v153 :: v_dual_add_f32 v148, v159, v148
	v_add_f32_e32 v147, v229, v223
	v_mul_f32_e32 v159, 0x3f116cb1, v222
	v_add_f32_e32 v223, v121, v133
	s_delay_alu instid0(VALU_DEP_3) | instskip(NEXT) | instid1(VALU_DEP_2)
	v_add_f32_e32 v147, v206, v147
	v_mul_f32_e32 v162, 0x3df6dbef, v223
	s_delay_alu instid0(VALU_DEP_2) | instskip(NEXT) | instid1(VALU_DEP_1)
	v_add_f32_e32 v147, v208, v147
	v_add_f32_e32 v147, v210, v147
	s_delay_alu instid0(VALU_DEP_1)
	v_add_f32_e32 v147, v171, v147
	ds_store_2addr_b64 v217, v[148:149], v[146:147] offset0:8 offset1:9
	v_fma_f32 v146, 0xbeb58ec6, v160, -v247
	v_fma_f32 v148, 0xbf788fa5, v152, -v234
	v_add_f32_e32 v149, v233, v155
	v_fma_f32 v155, 0xbeb58ec6, v152, -v236
	s_delay_alu instid0(VALU_DEP_4) | instskip(NEXT) | instid1(VALU_DEP_3)
	v_add_f32_e32 v146, v146, v158
	v_dual_mul_f32 v158, 0x3f62ad3f, v220 :: v_dual_add_f32 v149, v188, v149
	s_delay_alu instid0(VALU_DEP_2) | instskip(SKIP_1) | instid1(VALU_DEP_1)
	v_add_f32_e32 v146, v148, v146
	v_fma_f32 v148, 0xbf3f9e67, v142, -v249
	v_add_f32_e32 v146, v148, v146
	v_fma_f32 v148, 0x3df6dbef, v164, -v251
	s_delay_alu instid0(VALU_DEP_1) | instskip(SKIP_1) | instid1(VALU_DEP_1)
	v_add_f32_e32 v146, v148, v146
	v_fma_f32 v148, 0x3f62ad3f, v122, -v253
	v_add_f32_e32 v146, v148, v146
	v_fma_f32 v148, 0xbf788fa5, v160, -v255
	v_mul_f32_e32 v160, 0xbf29c268, v221
	s_delay_alu instid0(VALU_DEP_2) | instskip(NEXT) | instid1(VALU_DEP_1)
	v_add_f32_e32 v148, v148, v156
	v_add_f32_e32 v148, v155, v148
	v_fma_f32 v155, 0x3f62ad3f, v142, -v211
	v_fma_f32 v142, 0xbeb58ec6, v142, -v240
	s_delay_alu instid0(VALU_DEP_2) | instskip(SKIP_2) | instid1(VALU_DEP_2)
	v_add_f32_e32 v148, v155, v148
	v_fma_f32 v155, 0x3f116cb1, v164, -v213
	v_fmac_f32_e32 v245, 0xbf6f5d39, v153
	v_dual_sub_f32 v153, v128, v118 :: v_dual_add_f32 v148, v155, v148
	s_delay_alu instid0(VALU_DEP_2) | instskip(SKIP_4) | instid1(VALU_DEP_4)
	v_add_f32_e32 v147, v245, v157
	v_fma_f32 v155, 0xbf3f9e67, v122, -v215
	v_fma_f32 v122, 0xbf788fa5, v122, -v244
	v_add_f32_e32 v149, v212, v149
	v_mul_f32_e32 v157, 0xbf6f5d39, v219
	v_dual_add_f32 v147, v248, v147 :: v_dual_add_f32 v148, v155, v148
	s_delay_alu instid0(VALU_DEP_3) | instskip(NEXT) | instid1(VALU_DEP_2)
	v_add_f32_e32 v149, v214, v149
	v_add_f32_e32 v147, v250, v147
	s_delay_alu instid0(VALU_DEP_2) | instskip(NEXT) | instid1(VALU_DEP_2)
	v_add_f32_e32 v149, v205, v149
	v_add_f32_e32 v147, v252, v147
	s_delay_alu instid0(VALU_DEP_1) | instskip(SKIP_4) | instid1(VALU_DEP_3)
	v_add_f32_e32 v147, v254, v147
	ds_store_2addr_b64 v217, v[148:149], v[146:147] offset0:10 offset1:11
	v_fma_f32 v146, 0x3df6dbef, v152, -v238
	v_sub_f32_e32 v148, v130, v116
	v_sub_f32_e32 v149, v132, v120
	v_add_f32_e32 v144, v146, v144
	s_delay_alu instid0(VALU_DEP_1) | instskip(SKIP_2) | instid1(VALU_DEP_2)
	v_add_f32_e32 v142, v142, v144
	v_fma_f32 v144, 0xbf3f9e67, v164, -v242
	v_sub_f32_e32 v164, v131, v117
	v_dual_add_f32 v145, v239, v145 :: v_dual_add_f32 v142, v144, v142
	s_delay_alu instid0(VALU_DEP_1) | instskip(NEXT) | instid1(VALU_DEP_2)
	v_dual_fmamk_f32 v144, v148, 0xbf52af12, v159 :: v_dual_add_f32 v143, v241, v145
	v_dual_mul_f32 v155, 0xbf52af12, v164 :: v_dual_add_f32 v122, v122, v142
	s_delay_alu instid0(VALU_DEP_2) | instskip(NEXT) | instid1(VALU_DEP_1)
	v_add_f32_e32 v143, v243, v143
	v_add_f32_e32 v123, v246, v143
	ds_store_b64 v217, v[122:123] offset:96
	v_add_f32_e32 v123, v118, v128
	v_sub_f32_e32 v217, v133, v121
	s_delay_alu instid0(VALU_DEP_2) | instskip(NEXT) | instid1(VALU_DEP_2)
	v_fma_f32 v122, 0x3f62ad3f, v123, -v154
	v_mul_f32_e32 v156, 0xbf7e222b, v217
	s_delay_alu instid0(VALU_DEP_2) | instskip(SKIP_1) | instid1(VALU_DEP_1)
	v_add_f32_e32 v142, v201, v122
	v_add_f32_e32 v122, v116, v130
	v_fma_f32 v143, 0x3f116cb1, v122, -v155
	s_delay_alu instid0(VALU_DEP_1) | instskip(NEXT) | instid1(VALU_DEP_1)
	v_dual_add_f32 v142, v143, v142 :: v_dual_fmamk_f32 v143, v153, 0xbeedf032, v158
	v_add_f32_e32 v143, v202, v143
	s_delay_alu instid0(VALU_DEP_1) | instskip(SKIP_1) | instid1(VALU_DEP_1)
	v_add_f32_e32 v143, v144, v143
	v_add_f32_e32 v144, v120, v132
	v_fma_f32 v145, 0x3df6dbef, v144, -v156
	s_delay_alu instid0(VALU_DEP_1) | instskip(SKIP_1) | instid1(VALU_DEP_1)
	v_add_f32_e32 v142, v145, v142
	v_fmamk_f32 v145, v149, 0xbf7e222b, v162
	v_add_f32_e32 v143, v145, v143
	v_add_f32_e32 v145, v140, v134
	s_delay_alu instid0(VALU_DEP_1) | instskip(NEXT) | instid1(VALU_DEP_1)
	v_fma_f32 v146, 0xbeb58ec6, v145, -v157
	v_add_f32_e32 v142, v146, v142
	v_fmamk_f32 v146, v150, 0xbf6f5d39, v166
	s_delay_alu instid0(VALU_DEP_1) | instskip(SKIP_1) | instid1(VALU_DEP_1)
	v_add_f32_e32 v143, v146, v143
	v_add_f32_e32 v146, v138, v124
	v_fma_f32 v147, 0xbf3f9e67, v146, -v160
	s_delay_alu instid0(VALU_DEP_1) | instskip(SKIP_1) | instid1(VALU_DEP_1)
	v_add_f32_e32 v142, v147, v142
	v_fmamk_f32 v147, v151, 0xbf29c268, v165
	v_add_f32_e32 v143, v147, v143
	v_add_f32_e32 v147, v136, v126
	s_delay_alu instid0(VALU_DEP_1) | instskip(NEXT) | instid1(VALU_DEP_1)
	v_fma_f32 v152, 0xbf788fa5, v147, -v161
	v_add_f32_e32 v142, v152, v142
	v_sub_f32_e32 v152, v126, v136
	s_delay_alu instid0(VALU_DEP_1) | instskip(NEXT) | instid1(VALU_DEP_1)
	v_fmamk_f32 v170, v152, 0xbe750f2a, v167
	v_add_f32_e32 v143, v170, v143
	s_and_saveexec_b32 s1, vcc_lo
	s_cbranch_execz .LBB0_17
; %bb.16:
	v_dual_add_f32 v129, v129, v202 :: v_dual_add_f32 v128, v128, v201
	v_mul_f32_e32 v177, 0xbf29c268, v163
	v_mul_f32_e32 v209, 0x3df6dbef, v226
	s_delay_alu instid0(VALU_DEP_3) | instskip(NEXT) | instid1(VALU_DEP_4)
	v_dual_mul_f32 v178, 0x3f7e222b, v164 :: v_dual_add_f32 v129, v131, v129
	v_add_f32_e32 v128, v130, v128
	v_dual_mul_f32 v170, 0x3df6dbef, v225 :: v_dual_mul_f32 v173, 0x3df6dbef, v222
	v_mul_f32_e32 v171, 0x3f7e222b, v224
	s_delay_alu instid0(VALU_DEP_3) | instskip(SKIP_1) | instid1(VALU_DEP_2)
	v_dual_add_f32 v129, v133, v129 :: v_dual_add_f32 v128, v132, v128
	v_dual_mul_f32 v172, 0xbf3f9e67, v220 :: v_dual_mul_f32 v207, 0xbf3f9e67, v222
	v_dual_mul_f32 v212, 0x3f29c268, v164 :: v_dual_add_f32 v129, v135, v129
	s_delay_alu instid0(VALU_DEP_3) | instskip(SKIP_3) | instid1(VALU_DEP_4)
	v_add_f32_e32 v128, v134, v128
	v_mul_f32_e32 v134, 0xbe750f2a, v163
	v_mul_f32_e32 v132, 0xbf788fa5, v220
	;; [unrolled: 1-line block ×3, first 2 shown]
	v_dual_add_f32 v125, v125, v129 :: v_dual_add_f32 v124, v124, v128
	v_mul_f32_e32 v133, 0x3f62ad3f, v222
	v_mul_f32_e32 v174, 0x3f116cb1, v223
	s_delay_alu instid0(VALU_DEP_3) | instskip(NEXT) | instid1(VALU_DEP_4)
	v_dual_mul_f32 v176, 0x3f62ad3f, v227 :: v_dual_add_f32 v125, v127, v125
	v_add_f32_e32 v124, v126, v124
	v_dual_fmamk_f32 v126, v122, 0xbf3f9e67, v212 :: v_dual_mul_f32 v239, 0xbf3f9e67, v225
	v_dual_mul_f32 v180, 0x3e750f2a, v219 :: v_dual_mul_f32 v215, 0x3e750f2a, v221
	s_delay_alu instid0(VALU_DEP_3) | instskip(SKIP_3) | instid1(VALU_DEP_4)
	v_dual_add_f32 v125, v137, v125 :: v_dual_add_f32 v124, v136, v124
	v_mul_f32_e32 v136, 0xbf3f9e67, v223
	v_mul_f32_e32 v235, 0xbe750f2a, v164
	;; [unrolled: 1-line block ×3, first 2 shown]
	v_dual_add_f32 v125, v139, v125 :: v_dual_add_f32 v124, v138, v124
	v_mul_f32_e32 v230, 0xbf788fa5, v222
	s_delay_alu instid0(VALU_DEP_3) | instskip(NEXT) | instid1(VALU_DEP_3)
	v_dual_fmamk_f32 v128, v122, 0xbf788fa5, v235 :: v_dual_sub_f32 v131, v159, v131
	v_dual_add_f32 v125, v141, v125 :: v_dual_add_f32 v124, v140, v124
	v_mul_f32_e32 v140, 0xbeb58ec6, v227
	s_delay_alu instid0(VALU_DEP_4) | instskip(SKIP_1) | instid1(VALU_DEP_4)
	v_fmamk_f32 v127, v148, 0x3e750f2a, v230
	v_mul_f32_e32 v229, 0x3df6dbef, v220
	v_dual_add_f32 v121, v121, v125 :: v_dual_add_f32 v120, v120, v124
	v_fmamk_f32 v124, v122, 0x3df6dbef, v178
	v_mul_f32_e32 v211, 0xbf6f5d39, v163
	v_mul_f32_e32 v188, 0xbeb58ec6, v225
	s_delay_alu instid0(VALU_DEP_4) | instskip(SKIP_3) | instid1(VALU_DEP_4)
	v_dual_add_f32 v117, v117, v121 :: v_dual_add_f32 v116, v116, v120
	v_fmamk_f32 v120, v122, 0x3f62ad3f, v135
	v_mul_f32_e32 v205, 0xbf6f5d39, v224
	v_fmamk_f32 v125, v148, 0xbf29c268, v207
	v_dual_add_f32 v117, v119, v117 :: v_dual_add_f32 v116, v118, v116
	v_fmamk_f32 v118, v153, 0x3e750f2a, v132
	v_dual_mul_f32 v206, 0xbeb58ec6, v220 :: v_dual_mul_f32 v231, 0xbeb58ec6, v223
	v_fmamk_f32 v119, v148, 0xbeedf032, v133
	v_mul_f32_e32 v208, 0x3f62ad3f, v223
	s_delay_alu instid0(VALU_DEP_4)
	v_add_f32_e32 v118, v202, v118
	v_mul_f32_e32 v210, 0xbf788fa5, v227
	v_mul_f32_e32 v164, 0xbf6f5d39, v164
	;; [unrolled: 1-line block ×3, first 2 shown]
	v_dual_mul_f32 v238, 0xbf52af12, v221 :: v_dual_mul_f32 v163, 0xbf52af12, v163
	v_add_f32_e32 v118, v119, v118
	v_fmamk_f32 v119, v123, 0xbf788fa5, v134
	v_fmamk_f32 v130, v122, 0xbeb58ec6, v164
	v_mul_f32_e32 v216, 0x3f116cb1, v225
	v_dual_mul_f32 v232, 0x3f62ad3f, v226 :: v_dual_mul_f32 v225, 0x3f62ad3f, v225
	s_delay_alu instid0(VALU_DEP_4) | instskip(SKIP_3) | instid1(VALU_DEP_4)
	v_dual_add_f32 v119, v201, v119 :: v_dual_mul_f32 v222, 0xbeb58ec6, v222
	v_mul_f32_e32 v236, 0x3f6f5d39, v217
	v_mul_f32_e32 v220, 0x3f116cb1, v220
	v_fmac_f32_e32 v133, 0x3eedf032, v148
	v_dual_add_f32 v119, v120, v119 :: v_dual_fmamk_f32 v120, v149, 0x3f29c268, v136
	v_fmamk_f32 v129, v148, 0x3f6f5d39, v222
	v_mul_f32_e32 v138, 0x3f116cb1, v226
	v_mul_f32_e32 v179, 0xbf52af12, v217
	v_fmamk_f32 v121, v148, 0xbf7e222b, v173
	v_dual_add_f32 v118, v120, v118 :: v_dual_mul_f32 v137, 0xbf29c268, v217
	v_mul_f32_e32 v175, 0xbf788fa5, v226
	v_mul_f32_e32 v226, 0xbf3f9e67, v226
	;; [unrolled: 1-line block ×4, first 2 shown]
	v_fmamk_f32 v120, v144, 0xbf3f9e67, v137
	v_mul_f32_e32 v233, 0x3f116cb1, v227
	v_mul_f32_e32 v227, 0x3df6dbef, v227
	;; [unrolled: 1-line block ×3, first 2 shown]
	s_delay_alu instid0(VALU_DEP_4) | instskip(SKIP_3) | instid1(VALU_DEP_3)
	v_dual_mul_f32 v228, 0x3f52af12, v224 :: v_dual_add_f32 v119, v120, v119
	v_fmamk_f32 v120, v150, 0xbf52af12, v138
	v_fmac_f32_e32 v138, 0x3f52af12, v150
	v_dual_mul_f32 v224, 0x3eedf032, v224 :: v_dual_mul_f32 v213, 0x3eedf032, v217
	v_dual_mul_f32 v223, 0xbf788fa5, v223 :: v_dual_add_f32 v118, v120, v118
	v_mul_f32_e32 v139, 0x3f52af12, v219
	v_mul_f32_e32 v237, 0x3eedf032, v219
	;; [unrolled: 1-line block ×4, first 2 shown]
	v_fmac_f32_e32 v173, 0x3f7e222b, v148
	v_fmamk_f32 v120, v145, 0x3f116cb1, v139
	v_fmac_f32_e32 v207, 0x3f29c268, v148
	s_delay_alu instid0(VALU_DEP_2) | instskip(SKIP_1) | instid1(VALU_DEP_2)
	v_dual_add_f32 v119, v120, v119 :: v_dual_fmamk_f32 v120, v151, 0x3f6f5d39, v140
	v_mul_f32_e32 v141, 0xbf6f5d39, v221
	v_dual_mul_f32 v221, 0x3f7e222b, v221 :: v_dual_add_f32 v118, v120, v118
	s_delay_alu instid0(VALU_DEP_2) | instskip(NEXT) | instid1(VALU_DEP_1)
	v_fmamk_f32 v120, v146, 0xbeb58ec6, v141
	v_add_f32_e32 v120, v120, v119
	v_fmamk_f32 v119, v152, 0xbf7e222b, v170
	s_delay_alu instid0(VALU_DEP_1) | instskip(SKIP_1) | instid1(VALU_DEP_1)
	v_add_f32_e32 v119, v119, v118
	v_fmamk_f32 v118, v147, 0x3df6dbef, v171
	v_add_f32_e32 v118, v118, v120
	v_fmamk_f32 v120, v153, 0x3f29c268, v172
	v_fmac_f32_e32 v172, 0xbf29c268, v153
	s_delay_alu instid0(VALU_DEP_2) | instskip(NEXT) | instid1(VALU_DEP_1)
	v_add_f32_e32 v120, v202, v120
	v_add_f32_e32 v120, v121, v120
	v_fmamk_f32 v121, v149, 0x3f52af12, v174
	s_delay_alu instid0(VALU_DEP_1) | instskip(NEXT) | instid1(VALU_DEP_1)
	v_dual_add_f32 v120, v121, v120 :: v_dual_fmamk_f32 v121, v150, 0xbe750f2a, v175
	v_dual_fmac_f32 v175, 0x3e750f2a, v150 :: v_dual_add_f32 v120, v121, v120
	v_fmamk_f32 v121, v151, 0xbeedf032, v176
	s_delay_alu instid0(VALU_DEP_1) | instskip(NEXT) | instid1(VALU_DEP_1)
	v_dual_add_f32 v120, v121, v120 :: v_dual_fmamk_f32 v121, v123, 0xbf3f9e67, v177
	v_add_f32_e32 v121, v201, v121
	s_delay_alu instid0(VALU_DEP_1) | instskip(SKIP_1) | instid1(VALU_DEP_1)
	v_add_f32_e32 v121, v124, v121
	v_fmamk_f32 v124, v144, 0x3f116cb1, v179
	v_dual_add_f32 v121, v124, v121 :: v_dual_fmamk_f32 v124, v145, 0xbf788fa5, v180
	s_delay_alu instid0(VALU_DEP_1) | instskip(SKIP_1) | instid1(VALU_DEP_2)
	v_dual_add_f32 v121, v124, v121 :: v_dual_fmamk_f32 v124, v146, 0x3f62ad3f, v181
	v_fmac_f32_e32 v140, 0xbf6f5d39, v151
	v_add_f32_e32 v124, v124, v121
	v_fmamk_f32 v121, v152, 0x3f6f5d39, v188
	s_delay_alu instid0(VALU_DEP_1) | instskip(NEXT) | instid1(VALU_DEP_1)
	v_dual_add_f32 v121, v121, v120 :: v_dual_fmamk_f32 v120, v147, 0xbeb58ec6, v205
	v_add_f32_e32 v120, v120, v124
	v_fmamk_f32 v124, v153, 0x3f6f5d39, v206
	v_fmac_f32_e32 v206, 0xbf6f5d39, v153
	s_delay_alu instid0(VALU_DEP_2) | instskip(NEXT) | instid1(VALU_DEP_1)
	v_add_f32_e32 v124, v202, v124
	v_add_f32_e32 v124, v125, v124
	v_fmamk_f32 v125, v149, 0xbeedf032, v208
	s_delay_alu instid0(VALU_DEP_1) | instskip(NEXT) | instid1(VALU_DEP_1)
	v_dual_add_f32 v124, v125, v124 :: v_dual_fmamk_f32 v125, v150, 0x3f7e222b, v209
	v_dual_add_f32 v124, v125, v124 :: v_dual_fmamk_f32 v125, v151, 0xbe750f2a, v210
	s_delay_alu instid0(VALU_DEP_1) | instskip(SKIP_1) | instid1(VALU_DEP_1)
	v_dual_fmac_f32 v209, 0xbf7e222b, v150 :: v_dual_add_f32 v124, v125, v124
	v_fmamk_f32 v125, v123, 0xbeb58ec6, v211
	v_dual_fmac_f32 v188, 0xbf6f5d39, v152 :: v_dual_add_f32 v125, v201, v125
	s_delay_alu instid0(VALU_DEP_1) | instskip(NEXT) | instid1(VALU_DEP_1)
	v_dual_add_f32 v125, v126, v125 :: v_dual_fmamk_f32 v126, v144, 0x3f62ad3f, v213
	v_dual_add_f32 v125, v126, v125 :: v_dual_fmamk_f32 v126, v145, 0x3df6dbef, v214
	v_fmac_f32_e32 v174, 0xbf52af12, v149
	s_delay_alu instid0(VALU_DEP_2) | instskip(SKIP_2) | instid1(VALU_DEP_2)
	v_add_f32_e32 v125, v126, v125
	v_fmamk_f32 v126, v146, 0xbf788fa5, v215
	v_fmac_f32_e32 v176, 0x3eedf032, v151
	v_dual_add_f32 v126, v126, v125 :: v_dual_fmamk_f32 v125, v152, 0xbf52af12, v216
	s_delay_alu instid0(VALU_DEP_1) | instskip(NEXT) | instid1(VALU_DEP_1)
	v_dual_add_f32 v125, v125, v124 :: v_dual_fmamk_f32 v124, v147, 0x3f116cb1, v228
	v_add_f32_e32 v124, v124, v126
	v_fmamk_f32 v126, v153, 0x3f7e222b, v229
	s_delay_alu instid0(VALU_DEP_1) | instskip(NEXT) | instid1(VALU_DEP_1)
	v_dual_fmac_f32 v229, 0xbf7e222b, v153 :: v_dual_add_f32 v126, v202, v126
	v_dual_add_f32 v126, v127, v126 :: v_dual_fmamk_f32 v127, v149, 0xbf6f5d39, v231
	s_delay_alu instid0(VALU_DEP_1) | instskip(SKIP_3) | instid1(VALU_DEP_3)
	v_dual_fmac_f32 v231, 0x3f6f5d39, v149 :: v_dual_add_f32 v126, v127, v126
	v_fmamk_f32 v127, v150, 0xbeedf032, v232
	v_fmac_f32_e32 v232, 0x3eedf032, v150
	v_fmac_f32_e32 v132, 0xbe750f2a, v153
	v_add_f32_e32 v126, v127, v126
	s_delay_alu instid0(VALU_DEP_2) | instskip(SKIP_3) | instid1(VALU_DEP_4)
	v_dual_fmamk_f32 v127, v151, 0x3f52af12, v233 :: v_dual_add_f32 v132, v202, v132
	v_fmac_f32_e32 v233, 0xbf52af12, v151
	v_fmac_f32_e32 v170, 0x3f7e222b, v152
	v_fmac_f32_e32 v136, 0xbf29c268, v149
	v_add_f32_e32 v126, v127, v126
	v_dual_fmamk_f32 v127, v123, 0x3df6dbef, v234 :: v_dual_add_f32 v132, v133, v132
	v_fma_f32 v133, 0xbf788fa5, v123, -v134
	v_fma_f32 v134, 0x3f62ad3f, v122, -v135
	;; [unrolled: 1-line block ×3, first 2 shown]
	s_delay_alu instid0(VALU_DEP_4) | instskip(NEXT) | instid1(VALU_DEP_4)
	v_add_f32_e32 v127, v201, v127
	v_add_f32_e32 v133, v201, v133
	s_delay_alu instid0(VALU_DEP_2) | instskip(NEXT) | instid1(VALU_DEP_2)
	v_add_f32_e32 v127, v128, v127
	v_dual_fmamk_f32 v128, v144, 0xbeb58ec6, v236 :: v_dual_add_f32 v133, v134, v133
	v_fma_f32 v134, 0xbf3f9e67, v144, -v137
	v_fma_f32 v137, 0xbeb58ec6, v147, -v205
	s_delay_alu instid0(VALU_DEP_3) | instskip(NEXT) | instid1(VALU_DEP_3)
	v_dual_add_f32 v127, v128, v127 :: v_dual_fmamk_f32 v128, v145, 0x3f62ad3f, v237
	v_add_f32_e32 v133, v134, v133
	v_fma_f32 v134, 0x3f116cb1, v145, -v139
	v_add_f32_e32 v132, v136, v132
	v_fma_f32 v136, 0x3df6dbef, v122, -v178
	v_dual_add_f32 v127, v128, v127 :: v_dual_fmamk_f32 v128, v146, 0x3f116cb1, v238
	s_delay_alu instid0(VALU_DEP_4) | instskip(NEXT) | instid1(VALU_DEP_4)
	v_add_f32_e32 v133, v134, v133
	v_add_f32_e32 v132, v138, v132
	v_fma_f32 v134, 0xbeb58ec6, v146, -v141
	v_fma_f32 v138, 0xbf3f9e67, v122, -v212
	v_add_f32_e32 v128, v128, v127
	v_fmamk_f32 v127, v152, 0x3f29c268, v239
	v_add_f32_e32 v132, v140, v132
	v_dual_add_f32 v134, v134, v133 :: v_dual_fmac_f32 v239, 0xbf29c268, v152
	v_fma_f32 v139, 0x3f116cb1, v147, -v228
	s_delay_alu instid0(VALU_DEP_4) | instskip(NEXT) | instid1(VALU_DEP_4)
	v_add_f32_e32 v127, v127, v126
	v_dual_fmamk_f32 v126, v147, 0xbf3f9e67, v240 :: v_dual_add_f32 v133, v170, v132
	s_delay_alu instid0(VALU_DEP_4) | instskip(SKIP_2) | instid1(VALU_DEP_4)
	v_add_f32_e32 v132, v135, v134
	v_fma_f32 v135, 0xbf3f9e67, v123, -v177
	v_fmac_f32_e32 v208, 0x3eedf032, v149
	v_add_f32_e32 v126, v126, v128
	v_fmamk_f32 v128, v153, 0x3f52af12, v220
	v_fma_f32 v141, 0xbf788fa5, v122, -v235
	s_delay_alu instid0(VALU_DEP_2) | instskip(NEXT) | instid1(VALU_DEP_1)
	v_dual_add_f32 v135, v201, v135 :: v_dual_add_f32 v128, v202, v128
	v_add_f32_e32 v135, v136, v135
	v_fma_f32 v136, 0x3f116cb1, v144, -v179
	s_delay_alu instid0(VALU_DEP_3) | instskip(SKIP_2) | instid1(VALU_DEP_4)
	v_add_f32_e32 v128, v129, v128
	v_fmamk_f32 v129, v149, 0x3e750f2a, v223
	v_fmac_f32_e32 v223, 0xbe750f2a, v149
	v_add_f32_e32 v135, v136, v135
	v_fma_f32 v136, 0xbf788fa5, v145, -v180
	s_delay_alu instid0(VALU_DEP_4) | instskip(NEXT) | instid1(VALU_DEP_2)
	v_dual_add_f32 v128, v129, v128 :: v_dual_fmamk_f32 v129, v150, 0xbf29c268, v226
	v_add_f32_e32 v135, v136, v135
	v_fma_f32 v136, 0x3f62ad3f, v146, -v181
	s_delay_alu instid0(VALU_DEP_3) | instskip(NEXT) | instid1(VALU_DEP_1)
	v_dual_add_f32 v128, v129, v128 :: v_dual_fmamk_f32 v129, v151, 0xbf7e222b, v227
	v_dual_add_f32 v128, v129, v128 :: v_dual_fmamk_f32 v129, v123, 0x3f116cb1, v163
	v_dual_add_f32 v134, v202, v172 :: v_dual_fmac_f32 v227, 0x3f7e222b, v151
	s_delay_alu instid0(VALU_DEP_2) | instskip(NEXT) | instid1(VALU_DEP_2)
	v_dual_fmac_f32 v216, 0x3f52af12, v152 :: v_dual_add_f32 v129, v201, v129
	v_add_f32_e32 v134, v173, v134
	s_delay_alu instid0(VALU_DEP_2) | instskip(SKIP_1) | instid1(VALU_DEP_3)
	v_dual_fmac_f32 v210, 0x3e750f2a, v151 :: v_dual_add_f32 v129, v130, v129
	v_fmamk_f32 v130, v144, 0xbf788fa5, v217
	v_add_f32_e32 v134, v174, v134
	s_delay_alu instid0(VALU_DEP_2) | instskip(NEXT) | instid1(VALU_DEP_1)
	v_dual_add_f32 v129, v130, v129 :: v_dual_fmamk_f32 v130, v145, 0xbf3f9e67, v219
	v_add_f32_e32 v129, v130, v129
	v_fmamk_f32 v130, v146, 0x3df6dbef, v221
	s_delay_alu instid0(VALU_DEP_1) | instskip(SKIP_1) | instid1(VALU_DEP_2)
	v_dual_add_f32 v130, v130, v129 :: v_dual_fmamk_f32 v129, v152, 0xbeedf032, v225
	v_dual_fmac_f32 v225, 0x3eedf032, v152 :: v_dual_add_f32 v134, v175, v134
	v_dual_add_f32 v136, v136, v135 :: v_dual_add_f32 v129, v129, v128
	v_fmamk_f32 v128, v147, 0x3f62ad3f, v224
	s_delay_alu instid0(VALU_DEP_3) | instskip(SKIP_1) | instid1(VALU_DEP_3)
	v_add_f32_e32 v134, v176, v134
	v_fmac_f32_e32 v230, 0xbe750f2a, v148
	v_add_f32_e32 v128, v128, v130
	s_delay_alu instid0(VALU_DEP_3) | instskip(SKIP_3) | instid1(VALU_DEP_4)
	v_dual_mul_f32 v130, 0xbeedf032, v153 :: v_dual_add_f32 v135, v188, v134
	v_add_f32_e32 v134, v137, v136
	v_fma_f32 v137, 0xbeb58ec6, v123, -v211
	v_add_f32_e32 v136, v202, v206
	v_sub_f32_e32 v130, v158, v130
	s_delay_alu instid0(VALU_DEP_3) | instskip(NEXT) | instid1(VALU_DEP_3)
	v_dual_mul_f32 v158, 0x3f62ad3f, v123 :: v_dual_add_f32 v137, v201, v137
	v_add_f32_e32 v136, v207, v136
	s_delay_alu instid0(VALU_DEP_3) | instskip(NEXT) | instid1(VALU_DEP_3)
	v_add_f32_e32 v130, v202, v130
	v_add_f32_e32 v154, v158, v154
	s_delay_alu instid0(VALU_DEP_4) | instskip(SKIP_1) | instid1(VALU_DEP_4)
	v_add_f32_e32 v137, v138, v137
	v_fma_f32 v138, 0x3f62ad3f, v144, -v213
	v_dual_add_f32 v130, v131, v130 :: v_dual_mul_f32 v131, 0xbf7e222b, v149
	s_delay_alu instid0(VALU_DEP_4) | instskip(NEXT) | instid1(VALU_DEP_3)
	v_add_f32_e32 v154, v201, v154
	v_dual_add_f32 v136, v208, v136 :: v_dual_add_f32 v137, v138, v137
	v_fma_f32 v138, 0x3df6dbef, v145, -v214
	s_delay_alu instid0(VALU_DEP_2) | instskip(NEXT) | instid1(VALU_DEP_1)
	v_dual_sub_f32 v131, v162, v131 :: v_dual_add_f32 v136, v209, v136
	v_dual_add_f32 v137, v138, v137 :: v_dual_add_f32 v130, v131, v130
	v_mul_f32_e32 v131, 0xbf6f5d39, v150
	v_fma_f32 v138, 0xbf788fa5, v146, -v215
	s_delay_alu instid0(VALU_DEP_4) | instskip(NEXT) | instid1(VALU_DEP_3)
	v_add_f32_e32 v136, v210, v136
	v_sub_f32_e32 v131, v166, v131
	s_delay_alu instid0(VALU_DEP_2) | instskip(NEXT) | instid1(VALU_DEP_2)
	v_dual_add_f32 v138, v138, v137 :: v_dual_add_f32 v137, v216, v136
	v_add_f32_e32 v130, v131, v130
	v_mul_f32_e32 v131, 0x3f116cb1, v122
	s_delay_alu instid0(VALU_DEP_3) | instskip(SKIP_4) | instid1(VALU_DEP_4)
	v_add_f32_e32 v136, v139, v138
	v_fma_f32 v138, 0x3df6dbef, v123, -v234
	v_fma_f32 v123, 0x3f116cb1, v123, -v163
	;; [unrolled: 1-line block ×3, first 2 shown]
	v_add_f32_e32 v131, v131, v155
	v_dual_mul_f32 v155, 0xbf29c268, v151 :: v_dual_add_f32 v138, v201, v138
	s_delay_alu instid0(VALU_DEP_4) | instskip(NEXT) | instid1(VALU_DEP_3)
	v_dual_add_f32 v123, v201, v123 :: v_dual_fmac_f32 v220, 0xbf52af12, v153
	v_add_f32_e32 v131, v131, v154
	s_delay_alu instid0(VALU_DEP_3) | instskip(NEXT) | instid1(VALU_DEP_4)
	v_dual_sub_f32 v155, v165, v155 :: v_dual_mul_f32 v154, 0x3df6dbef, v144
	v_add_f32_e32 v138, v141, v138
	s_delay_alu instid0(VALU_DEP_4) | instskip(SKIP_1) | instid1(VALU_DEP_4)
	v_add_f32_e32 v122, v122, v123
	v_fma_f32 v141, 0xbf788fa5, v144, -v217
	v_add_f32_e32 v130, v155, v130
	v_add_f32_e32 v154, v154, v156
	;; [unrolled: 1-line block ×3, first 2 shown]
	s_delay_alu instid0(VALU_DEP_4) | instskip(SKIP_1) | instid1(VALU_DEP_4)
	v_dual_mul_f32 v155, 0xbe750f2a, v152 :: v_dual_add_f32 v122, v141, v122
	v_fma_f32 v141, 0xbf3f9e67, v145, -v219
	v_dual_add_f32 v131, v154, v131 :: v_dual_mul_f32 v154, 0xbeb58ec6, v145
	v_add_f32_e32 v140, v202, v220
	s_delay_alu instid0(VALU_DEP_4) | instskip(SKIP_1) | instid1(VALU_DEP_4)
	v_dual_fmac_f32 v222, 0xbf6f5d39, v148 :: v_dual_sub_f32 v155, v167, v155
	v_fma_f32 v123, 0xbeb58ec6, v144, -v236
	v_add_f32_e32 v154, v154, v157
	v_fma_f32 v144, 0xbf3f9e67, v147, -v240
	s_delay_alu instid0(VALU_DEP_4)
	v_add_f32_e32 v140, v222, v140
	v_add_f32_e32 v122, v141, v122
	v_fma_f32 v141, 0x3df6dbef, v146, -v221
	v_dual_add_f32 v131, v154, v131 :: v_dual_mul_f32 v154, 0xbf3f9e67, v146
	v_add_f32_e32 v139, v230, v139
	v_add_f32_e32 v123, v123, v138
	;; [unrolled: 1-line block ×3, first 2 shown]
	v_fmac_f32_e32 v226, 0x3f29c268, v150
	v_add_f32_e32 v154, v154, v160
	v_fma_f32 v140, 0x3f62ad3f, v145, -v237
	v_add_f32_e32 v141, v141, v122
	scratch_load_b32 v122, off, off offset:96 th:TH_LOAD_LU ; 4-byte Folded Reload
	v_add_f32_e32 v139, v231, v139
	v_add_f32_e32 v154, v154, v131
	v_mul_f32_e32 v131, 0xbf788fa5, v147
	v_dual_add_f32 v123, v140, v123 :: v_dual_add_f32 v138, v226, v138
	s_delay_alu instid0(VALU_DEP_4) | instskip(SKIP_1) | instid1(VALU_DEP_4)
	v_add_f32_e32 v139, v232, v139
	v_fma_f32 v140, 0x3f116cb1, v146, -v238
	v_add_f32_e32 v156, v131, v161
	v_add_f32_e32 v131, v155, v130
	s_delay_alu instid0(VALU_DEP_4) | instskip(NEXT) | instid1(VALU_DEP_4)
	v_dual_add_f32 v138, v227, v138 :: v_dual_add_f32 v139, v233, v139
	v_add_f32_e32 v140, v140, v123
	s_delay_alu instid0(VALU_DEP_4) | instskip(SKIP_1) | instid1(VALU_DEP_4)
	v_add_f32_e32 v130, v156, v154
	v_fma_f32 v145, 0x3f62ad3f, v147, -v224
	v_add_f32_e32 v123, v239, v139
	v_add_f32_e32 v139, v225, v138
	s_delay_alu instid0(VALU_DEP_3)
	v_add_f32_e32 v138, v145, v141
	s_wait_loadcnt 0x0
	v_lshl_add_u32 v146, v122, 3, v204
	v_add_f32_e32 v122, v144, v140
	ds_store_2addr_b64 v146, v[116:117], v[130:131] offset1:1
	ds_store_2addr_b64 v146, v[128:129], v[126:127] offset0:2 offset1:3
	ds_store_2addr_b64 v146, v[124:125], v[120:121] offset0:4 offset1:5
	;; [unrolled: 1-line block ×5, first 2 shown]
	ds_store_b64 v146, v[142:143] offset:96
.LBB0_17:
	s_wait_alu 0xfffe
	s_or_b32 exec_lo, exec_lo, s1
	global_wb scope:SCOPE_SE
	s_wait_dscnt 0x0
	s_barrier_signal -1
	s_barrier_wait -1
	global_inv scope:SCOPE_SE
	ds_load_2addr_b64 v[116:119], v203 offset0:156 offset1:195
	v_add_nc_u32_e32 v129, 0x1000, v203
	v_add_nc_u32_e32 v130, 0x1800, v203
	s_wait_dscnt 0x0
	v_mul_f32_e32 v170, v29, v119
	v_add_nc_u32_e32 v131, 0x800, v203
	v_mul_f32_e32 v29, v29, v118
	s_delay_alu instid0(VALU_DEP_3)
	v_fmac_f32_e32 v170, v28, v118
	ds_load_2addr_b64 v[132:135], v131 offset0:134 offset1:173
	ds_load_2addr_b64 v[136:139], v129 offset0:34 offset1:73
	v_add_nc_u32_e32 v128, 0x400, v203
	v_fma_f32 v28, v28, v119, -v29
	s_wait_dscnt 0x1
	v_mul_f32_e32 v118, v31, v133
	v_mul_f32_e32 v31, v31, v132
	ds_load_2addr_b64 v[124:127], v203 offset1:39
	ds_load_2addr_b64 v[120:123], v203 offset0:78 offset1:117
	ds_load_2addr_b64 v[144:147], v130 offset0:12 offset1:51
	ds_load_b64 v[140:141], v203 offset:7488
	ds_load_2addr_b64 v[148:151], v128 offset0:106 offset1:145
	ds_load_2addr_b64 v[152:155], v129 offset0:112 offset1:151
	;; [unrolled: 1-line block ×3, first 2 shown]
	s_wait_dscnt 0x7
	v_mul_f32_e32 v171, v13, v139
	v_dual_mul_f32 v13, v13, v138 :: v_dual_fmac_f32 v118, v30, v132
	v_fma_f32 v29, v30, v133, -v31
	ds_load_2addr_b64 v[160:163], v130 offset0:90 offset1:129
	ds_load_2addr_b64 v[164:167], v131 offset0:56 offset1:95
	;; [unrolled: 1-line block ×3, first 2 shown]
	v_fmac_f32_e32 v171, v12, v138
	v_fma_f32 v30, v12, v139, -v13
	global_wb scope:SCOPE_SE
	s_wait_dscnt 0x0
	s_barrier_signal -1
	s_barrier_wait -1
	global_inv scope:SCOPE_SE
	v_mul_f32_e32 v12, v15, v144
	v_mul_f32_e32 v13, v15, v145
	;; [unrolled: 1-line block ×3, first 2 shown]
	v_dual_mul_f32 v15, v33, v148 :: v_dual_mul_f32 v132, v23, v147
	v_mul_f32_e32 v33, v35, v135
	v_fma_f32 v119, v14, v145, -v12
	v_dual_mul_f32 v12, v35, v134 :: v_dual_fmac_f32 v13, v14, v144
	v_mul_f32_e32 v14, v21, v152
	v_fmac_f32_e32 v132, v22, v146
	v_fmac_f32_e32 v33, v34, v134
	s_delay_alu instid0(VALU_DEP_4)
	v_fma_f32 v34, v34, v135, -v12
	v_mul_f32_e32 v135, v41, v151
	v_dual_mul_f32 v12, v41, v150 :: v_dual_fmac_f32 v31, v32, v148
	v_mul_f32_e32 v35, v21, v153
	v_fma_f32 v133, v20, v153, -v14
	v_mul_f32_e32 v41, v43, v157
	v_dual_mul_f32 v14, v43, v156 :: v_dual_fmac_f32 v135, v40, v150
	v_fma_f32 v40, v40, v151, -v12
	v_mul_f32_e32 v12, v37, v154
	v_fma_f32 v32, v32, v149, -v15
	v_dual_fmac_f32 v41, v42, v156 :: v_dual_mul_f32 v148, v19, v163
	v_fma_f32 v42, v42, v157, -v14
	v_mul_f32_e32 v138, v39, v161
	v_mul_f32_e32 v15, v23, v146
	;; [unrolled: 1-line block ×3, first 2 shown]
	v_fmac_f32_e32 v35, v20, v152
	v_fma_f32 v39, v36, v155, -v12
	v_mul_f32_e32 v146, v27, v159
	v_dual_mul_f32 v43, v37, v155 :: v_dual_mul_f32 v12, v27, v158
	v_fmac_f32_e32 v138, v38, v160
	v_fma_f32 v134, v22, v147, -v15
	s_delay_alu instid0(VALU_DEP_4) | instskip(NEXT) | instid1(VALU_DEP_4)
	v_fmac_f32_e32 v146, v26, v158
	v_dual_fmac_f32 v43, v36, v154 :: v_dual_mul_f32 v20, v9, v167
	v_mul_f32_e32 v15, v25, v164
	v_mul_f32_e32 v147, v17, v220
	v_fma_f32 v149, v26, v159, -v12
	v_mul_f32_e32 v12, v19, v162
	v_dual_fmac_f32 v20, v8, v166 :: v_dual_mul_f32 v139, v25, v165
	v_fmac_f32_e32 v148, v18, v162
	v_fma_f32 v144, v38, v161, -v14
	v_mul_f32_e32 v14, v17, v219
	v_fmac_f32_e32 v147, v16, v219
	v_fma_f32 v151, v18, v163, -v12
	v_mul_f32_e32 v18, v5, v222
	v_mul_f32_e32 v9, v9, v166
	v_fmac_f32_e32 v139, v24, v164
	v_fma_f32 v150, v16, v220, -v14
	v_mul_f32_e32 v19, v11, v137
	v_dual_mul_f32 v11, v11, v136 :: v_dual_fmac_f32 v18, v4, v221
	v_fma_f32 v16, v8, v167, -v9
	v_add_f32_e32 v8, v118, v171
	v_add_f32_e32 v14, v170, v13
	s_delay_alu instid0(VALU_DEP_4)
	v_fma_f32 v17, v10, v137, -v11
	v_sub_f32_e32 v11, v28, v119
	v_mul_f32_e32 v9, v5, v221
	v_fma_f32 v5, -0.5, v8, v124
	v_fma_f32 v145, v24, v165, -v15
	v_dual_fmac_f32 v19, v10, v136 :: v_dual_sub_f32 v12, v13, v171
	v_add_f32_e32 v10, v124, v170
	s_delay_alu instid0(VALU_DEP_4)
	v_dual_fmamk_f32 v8, v11, 0xbf737871, v5 :: v_dual_sub_f32 v15, v29, v30
	v_mul_f32_e32 v137, v7, v141
	v_fma_f32 v4, v4, v222, -v9
	v_mul_f32_e32 v7, v7, v140
	v_dual_fmac_f32 v5, 0x3f737871, v11 :: v_dual_add_f32 v22, v125, v28
	v_dual_fmac_f32 v8, 0xbf167918, v15 :: v_dual_add_f32 v9, v10, v118
	v_sub_f32_e32 v10, v170, v118
	s_delay_alu instid0(VALU_DEP_4) | instskip(SKIP_2) | instid1(VALU_DEP_4)
	v_fma_f32 v7, v6, v141, -v7
	v_add_f32_e32 v23, v29, v30
	v_dual_sub_f32 v25, v119, v30 :: v_dual_add_f32 v26, v33, v35
	v_add_f32_e32 v21, v10, v12
	v_fma_f32 v10, -0.5, v14, v124
	v_add_f32_e32 v27, v126, v31
	v_add_f32_e32 v36, v34, v133
	s_delay_alu instid0(VALU_DEP_4) | instskip(NEXT) | instid1(VALU_DEP_4)
	v_dual_sub_f32 v37, v138, v43 :: v_dual_fmac_f32 v8, 0x3e9e377a, v21
	v_dual_add_f32 v9, v9, v171 :: v_dual_fmamk_f32 v12, v15, 0x3f737871, v10
	v_fmac_f32_e32 v137, v6, v140
	v_sub_f32_e32 v6, v118, v170
	v_add_f32_e32 v38, v135, v138
	s_delay_alu instid0(VALU_DEP_4)
	v_add_f32_e32 v14, v9, v13
	v_dual_fmac_f32 v12, 0xbf167918, v11 :: v_dual_sub_f32 v9, v171, v13
	v_fmac_f32_e32 v5, 0x3f167918, v15
	v_fmac_f32_e32 v10, 0xbf737871, v15
	v_add_f32_e32 v124, v139, v148
	v_sub_f32_e32 v136, v137, v18
	v_add_f32_e32 v24, v6, v9
	s_delay_alu instid0(VALU_DEP_4)
	v_dual_add_f32 v9, v22, v29 :: v_dual_fmac_f32 v10, 0x3f167918, v11
	v_sub_f32_e32 v22, v170, v13
	v_fma_f32 v6, -0.5, v23, v125
	v_fmac_f32_e32 v5, 0x3e9e377a, v21
	v_dual_sub_f32 v21, v28, v29 :: v_dual_fmac_f32 v12, 0x3e9e377a, v24
	v_add_f32_e32 v11, v28, v119
	v_sub_f32_e32 v23, v118, v171
	v_add_f32_e32 v13, v9, v30
	v_fmamk_f32 v9, v22, 0x3f737871, v6
	v_fmac_f32_e32 v10, 0x3e9e377a, v24
	v_add_f32_e32 v24, v21, v25
	v_dual_fmac_f32 v6, 0xbf737871, v22 :: v_dual_sub_f32 v21, v29, v28
	v_dual_sub_f32 v25, v30, v119 :: v_dual_add_f32 v30, v31, v132
	v_fma_f32 v11, -0.5, v11, v125
	v_dual_sub_f32 v28, v34, v133 :: v_dual_sub_f32 v29, v132, v35
	s_delay_alu instid0(VALU_DEP_3)
	v_add_f32_e32 v25, v21, v25
	v_fma_f32 v21, -0.5, v26, v126
	v_dual_sub_f32 v26, v32, v134 :: v_dual_fmac_f32 v9, 0x3f167918, v23
	v_fmac_f32_e32 v6, 0xbf167918, v23
	v_add_f32_e32 v15, v13, v119
	v_fma_f32 v126, -0.5, v30, v126
	v_add_f32_e32 v30, v127, v32
	v_fmac_f32_e32 v9, 0x3e9e377a, v24
	v_fmac_f32_e32 v6, 0x3e9e377a, v24
	v_add_f32_e32 v24, v27, v33
	v_fmamk_f32 v13, v23, 0xbf737871, v11
	v_fmac_f32_e32 v11, 0x3f737871, v23
	v_fmamk_f32 v23, v26, 0xbf737871, v21
	v_sub_f32_e32 v27, v31, v33
	v_fmac_f32_e32 v21, 0x3f737871, v26
	v_fmac_f32_e32 v13, 0x3f167918, v22
	v_dual_fmac_f32 v11, 0xbf167918, v22 :: v_dual_add_f32 v22, v24, v35
	s_delay_alu instid0(VALU_DEP_4) | instskip(SKIP_4) | instid1(VALU_DEP_4)
	v_dual_fmac_f32 v23, 0xbf167918, v28 :: v_dual_add_f32 v24, v27, v29
	v_fmamk_f32 v27, v28, 0x3f737871, v126
	v_fmac_f32_e32 v21, 0x3f167918, v28
	v_fmac_f32_e32 v126, 0xbf737871, v28
	v_dual_fmac_f32 v13, 0x3e9e377a, v25 :: v_dual_add_f32 v28, v30, v34
	v_dual_fmac_f32 v27, 0xbf167918, v26 :: v_dual_sub_f32 v30, v31, v132
	s_delay_alu instid0(VALU_DEP_3) | instskip(NEXT) | instid1(VALU_DEP_3)
	v_fmac_f32_e32 v126, 0x3f167918, v26
	v_add_f32_e32 v26, v28, v133
	v_fmac_f32_e32 v11, 0x3e9e377a, v25
	v_dual_add_f32 v25, v22, v132 :: v_dual_sub_f32 v22, v33, v31
	v_dual_add_f32 v28, v32, v134 :: v_dual_sub_f32 v31, v33, v35
	v_sub_f32_e32 v29, v35, v132
	v_dual_fmac_f32 v23, 0x3e9e377a, v24 :: v_dual_sub_f32 v132, v145, v149
	v_add_f32_e32 v26, v26, v134
	s_delay_alu instid0(VALU_DEP_3) | instskip(SKIP_3) | instid1(VALU_DEP_2)
	v_add_f32_e32 v29, v22, v29
	v_fma_f32 v22, -0.5, v36, v127
	v_fmac_f32_e32 v127, -0.5, v28
	v_dual_sub_f32 v33, v32, v34 :: v_dual_sub_f32 v36, v42, v39
	v_fmamk_f32 v28, v31, 0xbf737871, v127
	s_delay_alu instid0(VALU_DEP_1) | instskip(NEXT) | instid1(VALU_DEP_1)
	v_dual_fmac_f32 v28, 0x3f167918, v30 :: v_dual_sub_f32 v35, v134, v133
	v_add_f32_e32 v33, v33, v35
	v_fmac_f32_e32 v21, 0x3e9e377a, v24
	v_fmamk_f32 v24, v30, 0x3f737871, v22
	v_dual_fmac_f32 v22, 0xbf737871, v30 :: v_dual_add_f32 v35, v120, v135
	v_fmac_f32_e32 v126, 0x3e9e377a, v29
	s_delay_alu instid0(VALU_DEP_2) | instskip(SKIP_1) | instid1(VALU_DEP_2)
	v_fmac_f32_e32 v22, 0xbf167918, v31
	v_fmac_f32_e32 v27, 0x3e9e377a, v29
	;; [unrolled: 1-line block ×5, first 2 shown]
	s_delay_alu instid0(VALU_DEP_2) | instskip(SKIP_2) | instid1(VALU_DEP_4)
	v_fmac_f32_e32 v24, 0x3e9e377a, v33
	v_add_f32_e32 v33, v35, v41
	v_dual_sub_f32 v29, v34, v32 :: v_dual_sub_f32 v32, v133, v134
	v_dual_fmac_f32 v127, 0xbf167918, v30 :: v_dual_add_f32 v34, v41, v43
	s_delay_alu instid0(VALU_DEP_3) | instskip(SKIP_1) | instid1(VALU_DEP_4)
	v_add_f32_e32 v30, v33, v43
	v_fma_f32 v33, -0.5, v38, v120
	v_add_f32_e32 v32, v29, v32
	v_add_f32_e32 v38, v121, v40
	v_fma_f32 v29, -0.5, v34, v120
	v_sub_f32_e32 v34, v40, v144
	v_add_f32_e32 v134, v19, v18
	v_fmac_f32_e32 v28, 0x3e9e377a, v32
	v_dual_fmac_f32 v127, 0x3e9e377a, v32 :: v_dual_sub_f32 v32, v43, v138
	v_sub_f32_e32 v35, v135, v41
	s_delay_alu instid0(VALU_DEP_1) | instskip(SKIP_3) | instid1(VALU_DEP_3)
	v_dual_add_f32 v118, v35, v37 :: v_dual_add_f32 v35, v30, v138
	v_dual_fmamk_f32 v37, v36, 0x3f737871, v33 :: v_dual_sub_f32 v30, v41, v135
	v_fmac_f32_e32 v33, 0xbf737871, v36
	v_sub_f32_e32 v41, v41, v43
	v_dual_fmac_f32 v37, 0xbf167918, v34 :: v_dual_add_f32 v120, v30, v32
	v_add_f32_e32 v32, v38, v42
	v_fmamk_f32 v31, v34, 0xbf737871, v29
	v_fmac_f32_e32 v29, 0x3f737871, v34
	v_dual_fmac_f32 v33, 0x3f167918, v34 :: v_dual_add_f32 v34, v40, v144
	s_delay_alu instid0(VALU_DEP_3) | instskip(SKIP_1) | instid1(VALU_DEP_4)
	v_dual_sub_f32 v38, v40, v42 :: v_dual_fmac_f32 v31, 0xbf167918, v36
	v_sub_f32_e32 v40, v42, v40
	v_fmac_f32_e32 v29, 0x3f167918, v36
	s_delay_alu instid0(VALU_DEP_4) | instskip(SKIP_4) | instid1(VALU_DEP_3)
	v_fma_f32 v34, -0.5, v34, v121
	v_add_f32_e32 v119, v42, v39
	v_sub_f32_e32 v43, v144, v39
	v_dual_add_f32 v36, v32, v39 :: v_dual_sub_f32 v39, v39, v144
	v_add_f32_e32 v42, v146, v147
	v_dual_add_f32 v43, v38, v43 :: v_dual_fmamk_f32 v38, v41, 0xbf737871, v34
	v_fma_f32 v30, -0.5, v119, v121
	s_delay_alu instid0(VALU_DEP_4) | instskip(NEXT) | instid1(VALU_DEP_4)
	v_dual_sub_f32 v119, v135, v138 :: v_dual_add_f32 v40, v40, v39
	v_fma_f32 v39, -0.5, v42, v122
	v_sub_f32_e32 v42, v145, v151
	s_delay_alu instid0(VALU_DEP_3) | instskip(SKIP_3) | instid1(VALU_DEP_2)
	v_dual_sub_f32 v135, v16, v7 :: v_dual_fmamk_f32 v32, v119, 0x3f737871, v30
	v_fmac_f32_e32 v30, 0xbf737871, v119
	v_fmac_f32_e32 v38, 0x3f167918, v119
	v_add_f32_e32 v36, v36, v144
	v_fmac_f32_e32 v38, 0x3e9e377a, v40
	v_fmac_f32_e32 v32, 0x3f167918, v41
	;; [unrolled: 1-line block ×3, first 2 shown]
	v_dual_fmac_f32 v29, 0x3e9e377a, v118 :: v_dual_add_f32 v118, v122, v139
	v_fmac_f32_e32 v30, 0xbf167918, v41
	v_fmac_f32_e32 v34, 0x3f737871, v41
	;; [unrolled: 1-line block ×3, first 2 shown]
	v_dual_fmac_f32 v33, 0x3e9e377a, v120 :: v_dual_fmac_f32 v32, 0x3e9e377a, v43
	s_delay_alu instid0(VALU_DEP_4) | instskip(NEXT) | instid1(VALU_DEP_4)
	v_dual_fmac_f32 v30, 0x3e9e377a, v43 :: v_dual_add_f32 v43, v118, v146
	v_dual_sub_f32 v121, v149, v150 :: v_dual_fmac_f32 v34, 0xbf167918, v119
	v_sub_f32_e32 v118, v139, v146
	v_sub_f32_e32 v120, v148, v147
	s_delay_alu instid0(VALU_DEP_4)
	v_add_f32_e32 v43, v43, v147
	v_fma_f32 v122, -0.5, v124, v122
	v_fmac_f32_e32 v34, 0x3e9e377a, v40
	v_fmamk_f32 v41, v42, 0xbf737871, v39
	v_add_f32_e32 v119, v118, v120
	v_add_f32_e32 v118, v43, v148
	v_fmamk_f32 v120, v121, 0x3f737871, v122
	s_delay_alu instid0(VALU_DEP_4) | instskip(SKIP_3) | instid1(VALU_DEP_3)
	v_dual_sub_f32 v40, v146, v139 :: v_dual_fmac_f32 v41, 0xbf167918, v121
	v_sub_f32_e32 v43, v147, v148
	v_dual_add_f32 v125, v149, v150 :: v_dual_fmac_f32 v122, 0xbf737871, v121
	v_dual_fmac_f32 v39, 0x3f737871, v42 :: v_dual_add_f32 v124, v123, v145
	v_dual_fmac_f32 v120, 0xbf167918, v42 :: v_dual_add_f32 v43, v40, v43
	s_delay_alu instid0(VALU_DEP_3) | instskip(SKIP_1) | instid1(VALU_DEP_4)
	v_fma_f32 v40, -0.5, v125, v123
	v_sub_f32_e32 v125, v139, v148
	v_dual_fmac_f32 v39, 0x3f167918, v121 :: v_dual_fmac_f32 v122, 0x3f167918, v42
	v_fmac_f32_e32 v41, 0x3e9e377a, v119
	v_add_f32_e32 v139, v117, v16
	s_delay_alu instid0(VALU_DEP_4) | instskip(SKIP_3) | instid1(VALU_DEP_4)
	v_dual_fmamk_f32 v42, v125, 0x3f737871, v40 :: v_dual_add_f32 v121, v124, v149
	v_fmac_f32_e32 v120, 0x3e9e377a, v43
	v_fmac_f32_e32 v39, 0x3e9e377a, v119
	v_dual_sub_f32 v124, v146, v147 :: v_dual_sub_f32 v133, v151, v150
	v_dual_fmac_f32 v40, 0xbf737871, v125 :: v_dual_add_f32 v119, v121, v150
	v_fmac_f32_e32 v122, 0x3e9e377a, v43
	s_delay_alu instid0(VALU_DEP_3) | instskip(NEXT) | instid1(VALU_DEP_4)
	v_dual_add_f32 v121, v145, v151 :: v_dual_fmac_f32 v42, 0x3f167918, v124
	v_add_f32_e32 v43, v132, v133
	v_dual_sub_f32 v132, v149, v145 :: v_dual_sub_f32 v133, v150, v151
	s_delay_alu instid0(VALU_DEP_3) | instskip(SKIP_1) | instid1(VALU_DEP_3)
	v_fmac_f32_e32 v123, -0.5, v121
	v_dual_add_f32 v119, v119, v151 :: v_dual_fmac_f32 v40, 0xbf167918, v124
	v_dual_fmac_f32 v42, 0x3e9e377a, v43 :: v_dual_add_f32 v133, v132, v133
	s_delay_alu instid0(VALU_DEP_3) | instskip(SKIP_4) | instid1(VALU_DEP_4)
	v_fmamk_f32 v121, v124, 0xbf737871, v123
	v_fmac_f32_e32 v123, 0x3f737871, v124
	v_add_f32_e32 v132, v116, v20
	v_fma_f32 v124, -0.5, v134, v116
	v_fmac_f32_e32 v40, 0x3e9e377a, v43
	v_dual_sub_f32 v134, v20, v19 :: v_dual_fmac_f32 v123, 0xbf167918, v125
	s_delay_alu instid0(VALU_DEP_3) | instskip(SKIP_2) | instid1(VALU_DEP_2)
	v_dual_add_f32 v43, v132, v19 :: v_dual_fmamk_f32 v132, v135, 0xbf737871, v124
	v_fmac_f32_e32 v121, 0x3f167918, v125
	v_sub_f32_e32 v125, v17, v4
	v_dual_add_f32 v136, v134, v136 :: v_dual_fmac_f32 v121, 0x3e9e377a, v133
	s_delay_alu instid0(VALU_DEP_2) | instskip(SKIP_1) | instid1(VALU_DEP_1)
	v_fmac_f32_e32 v132, 0xbf167918, v125
	v_fmac_f32_e32 v124, 0x3f737871, v135
	v_fmac_f32_e32 v124, 0x3f167918, v125
	v_dual_add_f32 v138, v20, v137 :: v_dual_add_f32 v43, v43, v18
	s_delay_alu instid0(VALU_DEP_2) | instskip(NEXT) | instid1(VALU_DEP_2)
	v_fmac_f32_e32 v124, 0x3e9e377a, v136
	v_fma_f32 v116, -0.5, v138, v116
	s_delay_alu instid0(VALU_DEP_3) | instskip(SKIP_2) | instid1(VALU_DEP_4)
	v_dual_add_f32 v134, v43, v137 :: v_dual_add_f32 v43, v17, v4
	v_sub_f32_e32 v138, v18, v137
	v_fmac_f32_e32 v132, 0x3e9e377a, v136
	v_fmamk_f32 v136, v125, 0x3f737871, v116
	v_fmac_f32_e32 v116, 0xbf737871, v125
	v_fma_f32 v125, -0.5, v43, v117
	v_sub_f32_e32 v18, v19, v18
	s_delay_alu instid0(VALU_DEP_4) | instskip(SKIP_4) | instid1(VALU_DEP_3)
	v_fmac_f32_e32 v136, 0xbf167918, v135
	v_fmac_f32_e32 v123, 0x3e9e377a, v133
	v_dual_sub_f32 v133, v19, v20 :: v_dual_sub_f32 v20, v20, v137
	v_add_f32_e32 v137, v16, v7
	v_dual_fmac_f32 v116, 0x3f167918, v135 :: v_dual_add_f32 v135, v139, v17
	v_add_f32_e32 v43, v133, v138
	s_delay_alu instid0(VALU_DEP_3) | instskip(NEXT) | instid1(VALU_DEP_3)
	v_fmac_f32_e32 v117, -0.5, v137
	v_add_f32_e32 v19, v135, v4
	v_fmamk_f32 v133, v20, 0x3f737871, v125
	s_delay_alu instid0(VALU_DEP_4) | instskip(SKIP_2) | instid1(VALU_DEP_4)
	v_fmac_f32_e32 v136, 0x3e9e377a, v43
	v_dual_fmac_f32 v116, 0x3e9e377a, v43 :: v_dual_sub_f32 v135, v7, v4
	v_dual_sub_f32 v43, v16, v17 :: v_dual_sub_f32 v16, v17, v16
	v_dual_fmac_f32 v133, 0x3f167918, v18 :: v_dual_sub_f32 v4, v4, v7
	v_fmamk_f32 v137, v18, 0xbf737871, v117
	v_fmac_f32_e32 v117, 0x3f737871, v18
	v_fmac_f32_e32 v125, 0xbf737871, v20
	s_delay_alu instid0(VALU_DEP_4) | instskip(NEXT) | instid1(VALU_DEP_4)
	v_dual_add_f32 v17, v43, v135 :: v_dual_add_f32 v4, v16, v4
	v_fmac_f32_e32 v137, 0x3f167918, v20
	s_delay_alu instid0(VALU_DEP_4) | instskip(NEXT) | instid1(VALU_DEP_4)
	v_fmac_f32_e32 v117, 0xbf167918, v20
	v_fmac_f32_e32 v125, 0xbf167918, v18
	v_add_f32_e32 v135, v19, v7
	v_fmac_f32_e32 v133, 0x3e9e377a, v17
	v_fmac_f32_e32 v137, 0x3e9e377a, v4
	;; [unrolled: 1-line block ×3, first 2 shown]
	scratch_load_b32 v4, off, off offset:48 th:TH_LOAD_LU ; 4-byte Folded Reload
	v_fmac_f32_e32 v125, 0x3e9e377a, v17
	s_wait_loadcnt 0x0
	ds_store_2addr_b64 v4, v[14:15], v[8:9] offset1:13
	ds_store_2addr_b64 v4, v[12:13], v[10:11] offset0:26 offset1:39
	ds_store_b64 v4, v[5:6] offset:416
	scratch_load_b32 v4, off, off offset:64 th:TH_LOAD_LU ; 4-byte Folded Reload
	v_add_nc_u32_e32 v8, 0xc00, v203
	s_wait_loadcnt 0x0
	ds_store_2addr_b64 v4, v[25:26], v[23:24] offset1:13
	ds_store_2addr_b64 v4, v[27:28], v[126:127] offset0:26 offset1:39
	ds_store_b64 v4, v[21:22] offset:416
	scratch_load_b32 v4, off, off offset:60 th:TH_LOAD_LU ; 4-byte Folded Reload
	s_wait_loadcnt 0x0
	ds_store_2addr_b64 v4, v[35:36], v[31:32] offset1:13
	ds_store_2addr_b64 v4, v[37:38], v[33:34] offset0:26 offset1:39
	ds_store_b64 v4, v[29:30] offset:416
	scratch_load_b32 v4, off, off offset:56 th:TH_LOAD_LU ; 4-byte Folded Reload
	s_wait_loadcnt 0x0
	ds_store_2addr_b64 v4, v[118:119], v[41:42] offset1:13
	ds_store_2addr_b64 v4, v[120:121], v[122:123] offset0:26 offset1:39
	ds_store_b64 v4, v[39:40] offset:416
	scratch_load_b32 v4, off, off offset:52 th:TH_LOAD_LU ; 4-byte Folded Reload
	s_wait_loadcnt 0x0
	ds_store_2addr_b64 v4, v[134:135], v[132:133] offset1:13
	ds_store_2addr_b64 v4, v[136:137], v[116:117] offset0:26 offset1:39
	ds_store_b64 v4, v[124:125] offset:416
	global_wb scope:SCOPE_SE
	s_wait_dscnt 0x0
	s_barrier_signal -1
	s_barrier_wait -1
	global_inv scope:SCOPE_SE
	ds_load_2addr_b64 v[16:19], v203 offset1:39
	ds_load_2addr_b64 v[120:123], v131 offset0:69 offset1:108
	ds_load_2addr_b64 v[116:119], v129 offset0:138 offset1:177
	;; [unrolled: 1-line block ×11, first 2 shown]
	s_and_saveexec_b32 s1, s0
	s_cbranch_execz .LBB0_19
; %bb.18:
	ds_load_b64 v[124:125], v203 offset:2496
	ds_load_b64 v[142:143], v203 offset:5096
	;; [unrolled: 1-line block ×3, first 2 shown]
.LBB0_19:
	s_wait_alu 0xfffe
	s_or_b32 exec_lo, exec_lo, s1
	s_wait_dscnt 0xa
	v_dual_mul_f32 v129, v49, v121 :: v_dual_add_nc_u32 v126, 0x3a8, v218
	v_dual_mul_f32 v130, v49, v120 :: v_dual_add_nc_u32 v127, 0x270, v218
	v_add_nc_u32_e32 v49, 0x4e0, v218
	s_delay_alu instid0(VALU_DEP_3)
	v_dual_fmac_f32 v129, v48, v120 :: v_dual_mul_f32 v120, v53, v123
	v_mul_f32_e32 v53, v53, v122
	s_wait_dscnt 0x9
	v_mul_f32_e32 v131, v51, v117
	v_mul_f32_e32 v51, v51, v116
	v_fma_f32 v48, v48, v121, -v130
	v_fmac_f32_e32 v120, v52, v122
	v_fma_f32 v52, v52, v123, -v53
	s_wait_dscnt 0x7
	v_mul_f32_e32 v53, v45, v41
	v_mul_f32_e32 v45, v45, v40
	v_fmac_f32_e32 v131, v50, v116
	v_fma_f32 v50, v50, v117, -v51
	global_wb scope:SCOPE_SE
	s_wait_dscnt 0x0
	v_fmac_f32_e32 v53, v44, v40
	v_fma_f32 v41, v44, v41, -v45
	v_mul_f32_e32 v44, v61, v43
	v_mul_f32_e32 v51, v55, v119
	v_mul_f32_e32 v55, v55, v118
	v_dual_mul_f32 v40, v47, v36 :: v_dual_mul_f32 v45, v69, v35
	s_delay_alu instid0(VALU_DEP_4) | instskip(NEXT) | instid1(VALU_DEP_4)
	v_fmac_f32_e32 v44, v60, v42
	v_fmac_f32_e32 v51, v54, v118
	s_delay_alu instid0(VALU_DEP_4)
	v_fma_f32 v54, v54, v119, -v55
	v_mul_f32_e32 v55, v47, v37
	v_fma_f32 v37, v46, v37, -v40
	v_mul_f32_e32 v40, v63, v39
	v_mul_f32_e32 v47, v71, v31
	s_barrier_signal -1
	v_dual_fmac_f32 v55, v46, v36 :: v_dual_mul_f32 v36, v61, v42
	v_mul_f32_e32 v42, v63, v38
	v_fmac_f32_e32 v40, v62, v38
	v_mul_f32_e32 v38, v57, v32
	v_mul_f32_e32 v61, v65, v27
	v_fma_f32 v36, v60, v43, -v36
	v_mul_f32_e32 v43, v57, v33
	v_fma_f32 v39, v62, v39, -v42
	v_mul_f32_e32 v42, v59, v29
	v_mul_f32_e32 v57, v73, v25
	v_fma_f32 v38, v56, v33, -v38
	v_fmac_f32_e32 v43, v56, v32
	v_mul_f32_e32 v32, v59, v28
	v_fmac_f32_e32 v42, v58, v28
	v_dual_mul_f32 v28, v69, v34 :: v_dual_mul_f32 v59, v75, v21
	v_fmac_f32_e32 v57, v72, v24
	v_fmac_f32_e32 v61, v64, v26
	v_fma_f32 v46, v58, v29, -v32
	s_delay_alu instid0(VALU_DEP_4)
	v_fma_f32 v56, v68, v35, -v28
	v_mul_f32_e32 v28, v73, v24
	v_mul_f32_e32 v24, v75, v20
	v_dual_fmac_f32 v59, v74, v20 :: v_dual_mul_f32 v20, v65, v26
	v_fmac_f32_e32 v47, v70, v30
	v_mul_f32_e32 v29, v71, v30
	s_delay_alu instid0(VALU_DEP_4)
	v_fma_f32 v62, v74, v21, -v24
	v_add_f32_e32 v24, v17, v48
	v_fma_f32 v64, v64, v27, -v20
	v_sub_f32_e32 v27, v52, v54
	v_mul_f32_e32 v21, v67, v22
	v_dual_mul_f32 v63, v67, v23 :: v_dual_add_f32 v30, v12, v53
	v_add_f32_e32 v20, v129, v131
	v_fma_f32 v60, v72, v25, -v28
	s_delay_alu instid0(VALU_DEP_4) | instskip(SKIP_3) | instid1(VALU_DEP_3)
	v_fma_f32 v65, v66, v23, -v21
	v_add_f32_e32 v21, v48, v50
	v_dual_sub_f32 v23, v48, v50 :: v_dual_add_f32 v26, v18, v120
	v_dual_add_f32 v28, v19, v52 :: v_dual_sub_f32 v35, v36, v39
	v_fma_f32 v17, -0.5, v21, v17
	v_dual_add_f32 v21, v24, v50 :: v_dual_add_f32 v32, v13, v41
	v_add_f32_e32 v24, v120, v51
	s_barrier_wait -1
	global_inv scope:SCOPE_SE
	v_add_f32_e32 v48, v9, v60
	v_fma_f32 v18, -0.5, v24, v18
	v_dual_fmac_f32 v63, v66, v22 :: v_dual_add_f32 v22, v16, v129
	v_fma_f32 v58, v70, v31, -v29
	v_fma_f32 v16, -0.5, v20, v16
	v_sub_f32_e32 v31, v41, v37
	v_sub_f32_e32 v25, v129, v131
	v_dual_fmac_f32 v45, v68, v34 :: v_dual_add_f32 v20, v22, v131
	s_delay_alu instid0(VALU_DEP_4) | instskip(NEXT) | instid1(VALU_DEP_3)
	v_fmamk_f32 v22, v23, 0xbf5db3d7, v16
	v_dual_fmac_f32 v16, 0x3f5db3d7, v23 :: v_dual_fmamk_f32 v23, v25, 0x3f5db3d7, v17
	v_fmac_f32_e32 v17, 0xbf5db3d7, v25
	v_dual_add_f32 v25, v52, v54 :: v_dual_add_f32 v34, v14, v44
	v_sub_f32_e32 v29, v120, v51
	v_add_f32_e32 v24, v26, v51
	s_delay_alu instid0(VALU_DEP_3) | instskip(SKIP_2) | instid1(VALU_DEP_3)
	v_dual_fmamk_f32 v26, v27, 0xbf5db3d7, v18 :: v_dual_fmac_f32 v19, -0.5, v25
	v_dual_fmac_f32 v18, 0x3f5db3d7, v27 :: v_dual_add_f32 v51, v10, v61
	v_sub_f32_e32 v50, v57, v59
	v_fmamk_f32 v27, v29, 0x3f5db3d7, v19
	v_fmac_f32_e32 v19, 0xbf5db3d7, v29
	v_add_f32_e32 v29, v41, v37
	v_sub_f32_e32 v41, v43, v42
	s_delay_alu instid0(VALU_DEP_2) | instskip(SKIP_4) | instid1(VALU_DEP_3)
	v_fma_f32 v13, -0.5, v29, v13
	v_add_f32_e32 v29, v32, v37
	v_add_f32_e32 v32, v44, v40
	v_sub_f32_e32 v37, v44, v40
	v_add_f32_e32 v44, v7, v56
	v_fma_f32 v14, -0.5, v32, v14
	v_dual_add_f32 v25, v28, v54 :: v_dual_add_f32 v28, v53, v55
	v_add_f32_e32 v32, v34, v40
	v_dual_sub_f32 v40, v38, v46 :: v_dual_sub_f32 v33, v53, v55
	s_delay_alu instid0(VALU_DEP_4) | instskip(NEXT) | instid1(VALU_DEP_4)
	v_fmamk_f32 v34, v35, 0xbf5db3d7, v14
	v_fma_f32 v12, -0.5, v28, v12
	v_add_f32_e32 v28, v30, v55
	v_fmac_f32_e32 v14, 0x3f5db3d7, v35
	v_dual_sub_f32 v54, v61, v63 :: v_dual_add_f32 v53, v11, v64
	s_delay_alu instid0(VALU_DEP_4)
	v_fmamk_f32 v30, v31, 0xbf5db3d7, v12
	v_fmac_f32_e32 v12, 0x3f5db3d7, v31
	ds_store_2addr_b64 v203, v[20:21], v[22:23] offset1:65
	ds_store_b64 v203, v[16:17] offset:1040
	scratch_load_b32 v16, off, off offset:84 th:TH_LOAD_LU ; 4-byte Folded Reload
	v_fmamk_f32 v31, v33, 0x3f5db3d7, v13
	v_fmac_f32_e32 v13, 0xbf5db3d7, v33
	v_dual_add_f32 v33, v36, v39 :: v_dual_add_f32 v36, v15, v36
	s_delay_alu instid0(VALU_DEP_1) | instskip(NEXT) | instid1(VALU_DEP_2)
	v_fmac_f32_e32 v15, -0.5, v33
	v_dual_add_f32 v33, v36, v39 :: v_dual_add_f32 v36, v43, v42
	v_add_f32_e32 v39, v4, v43
	v_sub_f32_e32 v43, v56, v58
	s_delay_alu instid0(VALU_DEP_4)
	v_fmamk_f32 v35, v37, 0x3f5db3d7, v15
	v_fmac_f32_e32 v15, 0xbf5db3d7, v37
	v_fma_f32 v4, -0.5, v36, v4
	v_add_f32_e32 v37, v38, v46
	v_add_f32_e32 v36, v39, v42
	v_dual_add_f32 v39, v5, v38 :: v_dual_add_f32 v42, v6, v45
	s_delay_alu instid0(VALU_DEP_4)
	v_fmamk_f32 v38, v40, 0xbf5db3d7, v4
	v_fmac_f32_e32 v4, 0x3f5db3d7, v40
	v_add_f32_e32 v40, v45, v47
	v_fma_f32 v5, -0.5, v37, v5
	v_dual_add_f32 v37, v39, v46 :: v_dual_add_f32 v46, v8, v57
	s_wait_loadcnt 0x0
	ds_store_2addr_b64 v16, v[24:25], v[26:27] offset1:65
	ds_store_b64 v16, v[18:19] offset:1040
	ds_store_2addr_b64 v128, v[28:29], v[30:31] offset0:80 offset1:145
	s_clause 0x1
	scratch_load_b32 v18, off, off offset:76 th:TH_LOAD_LU
	scratch_load_b32 v19, off, off offset:80 th:TH_LOAD_LU
	v_fma_f32 v6, -0.5, v40, v6
	v_add_f32_e32 v40, v42, v47
	ds_store_b64 v203, v[12:13] offset:2704
	scratch_load_b32 v12, off, off offset:92 th:TH_LOAD_LU ; 4-byte Folded Reload
	v_fmamk_f32 v39, v41, 0x3f5db3d7, v5
	v_fmac_f32_e32 v5, 0xbf5db3d7, v41
	v_add_f32_e32 v41, v56, v58
	v_dual_sub_f32 v45, v45, v47 :: v_dual_fmamk_f32 v42, v43, 0xbf5db3d7, v6
	v_dual_fmac_f32 v6, 0x3f5db3d7, v43 :: v_dual_sub_f32 v47, v60, v62
	s_delay_alu instid0(VALU_DEP_3) | instskip(SKIP_1) | instid1(VALU_DEP_1)
	v_fmac_f32_e32 v7, -0.5, v41
	v_dual_add_f32 v41, v44, v58 :: v_dual_add_f32 v44, v57, v59
	v_fma_f32 v8, -0.5, v44, v8
	v_add_f32_e32 v44, v46, v59
	s_delay_alu instid0(VALU_DEP_2)
	v_fmamk_f32 v46, v47, 0xbf5db3d7, v8
	v_fmac_f32_e32 v8, 0x3f5db3d7, v47
	s_wait_loadcnt 0x2
	v_add_nc_u32_e32 v16, 0x800, v18
	v_fmamk_f32 v43, v45, 0x3f5db3d7, v7
	v_fmac_f32_e32 v7, 0xbf5db3d7, v45
	v_add_f32_e32 v45, v60, v62
	s_wait_loadcnt 0x1
	v_add_nc_u32_e32 v17, 0x1000, v19
	s_delay_alu instid0(VALU_DEP_2) | instskip(SKIP_1) | instid1(VALU_DEP_2)
	v_fma_f32 v9, -0.5, v45, v9
	v_dual_add_f32 v45, v48, v62 :: v_dual_add_f32 v48, v61, v63
	v_fmamk_f32 v47, v50, 0x3f5db3d7, v9
	v_dual_fmac_f32 v9, 0xbf5db3d7, v50 :: v_dual_add_f32 v50, v64, v65
	s_delay_alu instid0(VALU_DEP_3)
	v_fma_f32 v10, -0.5, v48, v10
	v_sub_f32_e32 v48, v64, v65
	s_wait_loadcnt 0x0
	ds_store_2addr_b64 v12, v[32:33], v[34:35] offset1:65
	ds_store_b64 v12, v[14:15] offset:1040
	ds_store_2addr_b64 v16, v[36:37], v[38:39] offset0:134 offset1:199
	ds_store_2addr_b64 v17, v[40:41], v[42:43] offset0:73 offset1:138
	scratch_load_b32 v13, off, off offset:72 th:TH_LOAD_LU ; 4-byte Folded Reload
	ds_store_b64 v18, v[4:5] offset:4160
	ds_store_b64 v19, v[6:7] offset:5720
	scratch_load_b32 v4, off, off offset:88 th:TH_LOAD_LU ; 4-byte Folded Reload
	v_dual_fmac_f32 v11, -0.5, v50 :: v_dual_add_f32 v50, v51, v63
	v_dual_fmamk_f32 v52, v48, 0xbf5db3d7, v10 :: v_dual_add_f32 v51, v53, v65
	s_delay_alu instid0(VALU_DEP_2)
	v_dual_fmac_f32 v10, 0x3f5db3d7, v48 :: v_dual_fmamk_f32 v53, v54, 0x3f5db3d7, v11
	v_fmac_f32_e32 v11, 0xbf5db3d7, v54
	s_wait_loadcnt 0x1
	v_add_nc_u32_e32 v12, 0x1800, v13
	s_wait_loadcnt 0x0
	ds_store_2addr_b64 v4, v[44:45], v[46:47] offset1:65
	ds_store_b64 v4, v[8:9] offset:1040
	ds_store_2addr_b64 v12, v[50:51], v[52:53] offset0:12 offset1:77
	ds_store_b64 v13, v[10:11] offset:7280
	s_and_saveexec_b32 s1, s0
	s_cbranch_execz .LBB0_21
; %bb.20:
	v_dual_mul_f32 v4, v1, v142 :: v_dual_mul_f32 v5, v3, v199
	v_dual_mul_f32 v6, v1, v143 :: v_dual_mul_f32 v7, v3, v200
	scratch_load_b32 v1, off, off offset:68 th:TH_LOAD_LU ; 4-byte Folded Reload
	v_fma_f32 v3, v0, v143, -v4
	v_fma_f32 v4, v2, v200, -v5
	v_dual_fmac_f32 v6, v0, v142 :: v_dual_fmac_f32 v7, v2, v199
	s_delay_alu instid0(VALU_DEP_2) | instskip(NEXT) | instid1(VALU_DEP_2)
	v_dual_add_f32 v5, v125, v3 :: v_dual_sub_f32 v10, v3, v4
	v_dual_add_f32 v0, v3, v4 :: v_dual_sub_f32 v9, v6, v7
	s_delay_alu instid0(VALU_DEP_2) | instskip(SKIP_2) | instid1(VALU_DEP_3)
	v_dual_add_f32 v2, v6, v7 :: v_dual_add_f32 v3, v5, v4
	s_wait_loadcnt 0x0
	v_lshl_add_u32 v8, v1, 3, v204
	v_fma_f32 v1, -0.5, v0, v125
	s_delay_alu instid0(VALU_DEP_3) | instskip(SKIP_1) | instid1(VALU_DEP_4)
	v_fma_f32 v0, -0.5, v2, v124
	v_add_f32_e32 v2, v124, v6
	v_add_nc_u32_e32 v6, 0x1800, v8
	s_delay_alu instid0(VALU_DEP_4) | instskip(NEXT) | instid1(VALU_DEP_4)
	v_fmamk_f32 v5, v9, 0xbf5db3d7, v1
	v_dual_fmac_f32 v1, 0x3f5db3d7, v9 :: v_dual_fmamk_f32 v4, v10, 0x3f5db3d7, v0
	s_delay_alu instid0(VALU_DEP_4)
	v_add_f32_e32 v2, v2, v7
	v_fmac_f32_e32 v0, 0xbf5db3d7, v10
	ds_store_2addr_b64 v6, v[2:3], v[0:1] offset0:12 offset1:77
	ds_store_b64 v8, v[4:5] offset:7280
.LBB0_21:
	s_wait_alu 0xfffe
	s_or_b32 exec_lo, exec_lo, s1
	global_wb scope:SCOPE_SE
	s_wait_dscnt 0x0
	s_barrier_signal -1
	s_barrier_wait -1
	global_inv scope:SCOPE_SE
	ds_load_2addr_b64 v[0:3], v203 offset0:156 offset1:195
	v_add_nc_u32_e32 v20, 0x800, v203
	s_mov_b32 s2, 0xaa677344
	s_mov_b32 s3, 0x3f50cdd9
	s_wait_dscnt 0x0
	v_mul_f32_e32 v47, v81, v2
	v_mul_f32_e32 v46, v81, v3
	v_add_nc_u32_e32 v19, 0x1000, v203
	s_delay_alu instid0(VALU_DEP_3) | instskip(NEXT) | instid1(VALU_DEP_3)
	v_fma_f32 v47, v80, v3, -v47
	v_fmac_f32_e32 v46, v80, v2
	ds_load_2addr_b64 v[12:15], v20 offset0:134 offset1:173
	ds_load_2addr_b64 v[26:29], v19 offset0:34 offset1:73
	v_add_nc_u32_e32 v18, 0x1800, v203
	s_wait_dscnt 0x1
	v_dual_mul_f32 v48, v83, v13 :: v_dual_add_nc_u32 v21, 0x400, v203
	s_wait_dscnt 0x0
	v_mul_f32_e32 v59, v93, v28
	ds_load_2addr_b64 v[8:11], v203 offset1:39
	ds_load_2addr_b64 v[4:7], v203 offset0:78 offset1:117
	ds_load_2addr_b64 v[22:25], v18 offset0:12 offset1:51
	ds_load_b64 v[16:17], v203 offset:7488
	ds_load_2addr_b64 v[30:33], v21 offset0:106 offset1:145
	ds_load_2addr_b64 v[34:37], v19 offset0:112 offset1:151
	;; [unrolled: 1-line block ×6, first 2 shown]
	v_mul_f32_e32 v2, v83, v12
	v_mul_f32_e32 v58, v93, v29
	v_dual_fmac_f32 v48, v82, v12 :: v_dual_mul_f32 v61, v79, v15
	v_fma_f32 v29, v92, v29, -v59
	s_delay_alu instid0(VALU_DEP_2)
	v_fmac_f32_e32 v61, v78, v14
	s_wait_dscnt 0x7
	v_mul_f32_e32 v65, v87, v25
	v_mul_f32_e32 v3, v95, v23
	s_wait_dscnt 0x5
	v_mul_f32_e32 v59, v77, v31
	v_fma_f32 v60, v82, v13, -v2
	v_dual_mul_f32 v2, v95, v22 :: v_dual_fmac_f32 v65, v86, v24
	v_mul_f32_e32 v12, v77, v30
	s_wait_dscnt 0x4
	v_dual_fmac_f32 v59, v76, v30 :: v_dual_mul_f32 v64, v85, v35
	s_delay_alu instid0(VALU_DEP_3) | instskip(SKIP_4) | instid1(VALU_DEP_3)
	v_fma_f32 v62, v94, v23, -v2
	v_dual_mul_f32 v2, v79, v14 :: v_dual_mul_f32 v69, v89, v33
	v_fma_f32 v63, v76, v31, -v12
	v_dual_mul_f32 v12, v85, v34 :: v_dual_mul_f32 v13, v87, v24
	s_wait_dscnt 0x3
	v_dual_mul_f32 v70, v91, v39 :: v_dual_fmac_f32 v69, v88, v32
	v_fma_f32 v66, v78, v15, -v2
	v_dual_fmac_f32 v64, v84, v34 :: v_dual_mul_f32 v71, v105, v37
	v_fma_f32 v67, v84, v35, -v12
	v_mul_f32_e32 v12, v91, v38
	s_wait_dscnt 0x1
	v_dual_fmac_f32 v70, v90, v38 :: v_dual_mul_f32 v75, v109, v51
	v_mul_f32_e32 v2, v89, v32
	v_fmac_f32_e32 v71, v104, v36
	v_fma_f32 v73, v90, v39, -v12
	v_mul_f32_e32 v79, v111, v41
	v_fmac_f32_e32 v75, v108, v50
	v_fma_f32 v72, v88, v33, -v2
	v_mul_f32_e32 v2, v105, v36
	s_delay_alu instid0(VALU_DEP_4) | instskip(SKIP_2) | instid1(VALU_DEP_4)
	v_dual_mul_f32 v12, v107, v42 :: v_dual_fmac_f32 v79, v110, v40
	v_fma_f32 v68, v86, v25, -v13
	v_dual_mul_f32 v74, v107, v43 :: v_dual_mul_f32 v13, v109, v50
	v_fma_f32 v76, v104, v37, -v2
	s_delay_alu instid0(VALU_DEP_4)
	v_fma_f32 v77, v106, v43, -v12
	v_dual_mul_f32 v2, v111, v40 :: v_dual_mul_f32 v25, v113, v53
	s_wait_dscnt 0x0
	v_mul_f32_e32 v12, v101, v54
	v_fmac_f32_e32 v58, v92, v28
	v_fma_f32 v78, v108, v51, -v13
	v_mul_f32_e32 v13, v115, v26
	v_fmac_f32_e32 v25, v112, v52
	v_fma_f32 v82, v100, v55, -v12
	v_dual_mul_f32 v12, v113, v52 :: v_dual_fmac_f32 v3, v94, v22
	v_dual_fmac_f32 v74, v106, v42 :: v_dual_mul_f32 v51, v103, v45
	v_mul_f32_e32 v80, v101, v55
	v_fma_f32 v81, v110, v41, -v2
	s_delay_alu instid0(VALU_DEP_4)
	v_dual_mul_f32 v2, v103, v44 :: v_dual_add_f32 v31, v46, v3
	v_mul_f32_e32 v24, v115, v27
	v_fma_f32 v23, v114, v27, -v13
	v_dual_mul_f32 v13, v97, v56 :: v_dual_add_f32 v14, v8, v46
	v_dual_fmac_f32 v51, v102, v44 :: v_dual_fmac_f32 v80, v100, v54
	v_mul_f32_e32 v27, v97, v57
	v_fma_f32 v83, v102, v45, -v2
	v_fmac_f32_e32 v24, v114, v26
	v_add_f32_e32 v2, v48, v58
	v_fma_f32 v26, v96, v57, -v13
	v_dual_add_f32 v13, v14, v48 :: v_dual_mul_f32 v84, v99, v17
	v_fma_f32 v22, v112, v53, -v12
	s_delay_alu instid0(VALU_DEP_4)
	v_fma_f32 v12, -0.5, v2, v8
	v_dual_sub_f32 v14, v46, v48 :: v_dual_add_f32 v33, v60, v29
	v_sub_f32_e32 v28, v3, v58
	v_add_f32_e32 v13, v13, v58
	v_dual_sub_f32 v15, v47, v62 :: v_dual_fmac_f32 v84, v98, v16
	v_mul_f32_e32 v16, v99, v16
	s_delay_alu instid0(VALU_DEP_4) | instskip(SKIP_1) | instid1(VALU_DEP_4)
	v_add_f32_e32 v32, v14, v28
	v_sub_f32_e32 v30, v60, v29
	v_fmamk_f32 v2, v15, 0xbf737871, v12
	v_fma_f32 v8, -0.5, v31, v8
	v_fma_f32 v28, v98, v17, -v16
	v_dual_add_f32 v16, v13, v3 :: v_dual_sub_f32 v13, v48, v46
	v_sub_f32_e32 v17, v58, v3
	v_fmac_f32_e32 v12, 0x3f737871, v15
	v_dual_add_f32 v31, v9, v47 :: v_dual_fmac_f32 v2, 0xbf167918, v30
	s_delay_alu instid0(VALU_DEP_3) | instskip(SKIP_2) | instid1(VALU_DEP_3)
	v_dual_fmamk_f32 v14, v30, 0x3f737871, v8 :: v_dual_add_f32 v17, v13, v17
	v_fma_f32 v13, -0.5, v33, v9
	v_dual_sub_f32 v33, v46, v3 :: v_dual_fmac_f32 v8, 0xbf737871, v30
	v_fmac_f32_e32 v14, 0xbf167918, v15
	v_add_f32_e32 v35, v10, v59
	s_delay_alu instid0(VALU_DEP_3)
	v_dual_sub_f32 v36, v66, v67 :: v_dual_fmamk_f32 v3, v33, 0x3f737871, v13
	v_fmac_f32_e32 v12, 0x3f167918, v30
	v_dual_fmac_f32 v13, 0xbf737871, v33 :: v_dual_add_f32 v30, v31, v60
	v_dual_sub_f32 v31, v48, v58 :: v_dual_fmac_f32 v8, 0x3f167918, v15
	v_sub_f32_e32 v37, v65, v64
	v_add_f32_e32 v39, v66, v67
	v_sub_f32_e32 v41, v68, v67
	s_delay_alu instid0(VALU_DEP_4)
	v_fmac_f32_e32 v13, 0xbf167918, v31
	v_dual_add_f32 v15, v30, v29 :: v_dual_add_f32 v30, v47, v62
	v_fmac_f32_e32 v2, 0x3e9e377a, v32
	v_fmac_f32_e32 v3, 0x3f167918, v31
	v_fmac_f32_e32 v12, 0x3e9e377a, v32
	v_sub_f32_e32 v32, v47, v60
	v_fma_f32 v9, -0.5, v30, v9
	v_dual_sub_f32 v34, v62, v29 :: v_dual_sub_f32 v29, v29, v62
	v_dual_fmac_f32 v8, 0x3e9e377a, v17 :: v_dual_sub_f32 v45, v74, v71
	v_dual_sub_f32 v48, v69, v74 :: v_dual_add_f32 v53, v6, v75
	s_delay_alu instid0(VALU_DEP_3) | instskip(SKIP_3) | instid1(VALU_DEP_4)
	v_add_f32_e32 v30, v32, v34
	v_sub_f32_e32 v32, v60, v47
	v_sub_f32_e32 v50, v70, v71
	v_add_f32_e32 v52, v79, v80
	v_dual_sub_f32 v54, v51, v80 :: v_dual_fmac_f32 v3, 0x3e9e377a, v30
	s_delay_alu instid0(VALU_DEP_4)
	v_dual_add_f32 v32, v32, v29 :: v_dual_fmac_f32 v13, 0x3e9e377a, v30
	v_add_f32_e32 v30, v35, v61
	v_dual_sub_f32 v35, v59, v61 :: v_dual_add_f32 v34, v61, v64
	v_dual_fmac_f32 v14, 0x3e9e377a, v17 :: v_dual_add_f32 v17, v15, v62
	v_fmamk_f32 v15, v31, 0xbf737871, v9
	v_fmac_f32_e32 v9, 0x3f737871, v31
	s_delay_alu instid0(VALU_DEP_4)
	v_add_f32_e32 v37, v35, v37
	v_fma_f32 v29, -0.5, v34, v10
	v_add_f32_e32 v30, v30, v64
	v_dual_sub_f32 v34, v63, v68 :: v_dual_fmac_f32 v15, 0x3f167918, v33
	v_fmac_f32_e32 v9, 0xbf167918, v33
	v_add_f32_e32 v47, v73, v76
	s_delay_alu instid0(VALU_DEP_4) | instskip(NEXT) | instid1(VALU_DEP_4)
	v_add_f32_e32 v33, v30, v65
	v_fmamk_f32 v31, v34, 0xbf737871, v29
	v_dual_fmac_f32 v29, 0x3f737871, v34 :: v_dual_add_f32 v38, v59, v65
	v_sub_f32_e32 v30, v61, v59
	v_sub_f32_e32 v55, v78, v83
	s_delay_alu instid0(VALU_DEP_4) | instskip(NEXT) | instid1(VALU_DEP_4)
	v_fmac_f32_e32 v31, 0xbf167918, v36
	v_fmac_f32_e32 v29, 0x3f167918, v36
	v_fma_f32 v10, -0.5, v38, v10
	v_fmac_f32_e32 v15, 0x3e9e377a, v32
	v_dual_fmac_f32 v9, 0x3e9e377a, v32 :: v_dual_sub_f32 v32, v64, v65
	v_fmac_f32_e32 v31, 0x3e9e377a, v37
	s_delay_alu instid0(VALU_DEP_4) | instskip(SKIP_1) | instid1(VALU_DEP_4)
	v_dual_fmamk_f32 v35, v36, 0x3f737871, v10 :: v_dual_add_f32 v38, v11, v63
	v_fmac_f32_e32 v10, 0xbf737871, v36
	v_dual_add_f32 v40, v30, v32 :: v_dual_fmac_f32 v29, 0x3e9e377a, v37
	s_delay_alu instid0(VALU_DEP_3) | instskip(NEXT) | instid1(VALU_DEP_4)
	v_fmac_f32_e32 v35, 0xbf167918, v34
	v_add_f32_e32 v32, v38, v66
	v_add_f32_e32 v36, v63, v68
	v_sub_f32_e32 v37, v63, v66
	v_fmac_f32_e32 v10, 0x3f167918, v34
	v_fma_f32 v30, -0.5, v39, v11
	v_dual_sub_f32 v38, v59, v65 :: v_dual_sub_f32 v39, v61, v64
	v_fmac_f32_e32 v35, 0x3e9e377a, v40
	s_delay_alu instid0(VALU_DEP_4) | instskip(SKIP_4) | instid1(VALU_DEP_3)
	v_fmac_f32_e32 v10, 0x3e9e377a, v40
	v_dual_add_f32 v40, v37, v41 :: v_dual_sub_f32 v37, v66, v63
	v_dual_add_f32 v34, v32, v67 :: v_dual_fmac_f32 v11, -0.5, v36
	v_dual_fmamk_f32 v32, v38, 0x3f737871, v30 :: v_dual_sub_f32 v41, v67, v68
	v_fmac_f32_e32 v27, v96, v56
	v_add_f32_e32 v34, v34, v68
	s_delay_alu instid0(VALU_DEP_4) | instskip(SKIP_3) | instid1(VALU_DEP_3)
	v_fmamk_f32 v36, v39, 0xbf737871, v11
	v_fmac_f32_e32 v11, 0x3f737871, v39
	v_dual_add_f32 v42, v70, v71 :: v_dual_add_f32 v43, v37, v41
	v_dual_fmac_f32 v32, 0x3f167918, v39 :: v_dual_add_f32 v41, v4, v69
	v_fmac_f32_e32 v11, 0xbf167918, v38
	s_delay_alu instid0(VALU_DEP_3)
	v_fma_f32 v37, -0.5, v42, v4
	v_sub_f32_e32 v42, v72, v77
	v_fmac_f32_e32 v30, 0xbf737871, v38
	v_sub_f32_e32 v44, v73, v76
	v_dual_fmac_f32 v32, 0x3e9e377a, v40 :: v_dual_fmac_f32 v11, 0x3e9e377a, v43
	v_add_f32_e32 v56, v75, v51
	s_delay_alu instid0(VALU_DEP_4) | instskip(SKIP_4) | instid1(VALU_DEP_4)
	v_fmac_f32_e32 v30, 0xbf167918, v39
	v_fmamk_f32 v39, v42, 0xbf737871, v37
	v_fmac_f32_e32 v37, 0x3f737871, v42
	v_add_f32_e32 v46, v69, v74
	v_fmac_f32_e32 v36, 0x3f167918, v38
	v_dual_sub_f32 v58, v75, v51 :: v_dual_fmac_f32 v39, 0xbf167918, v44
	v_fmac_f32_e32 v30, 0x3e9e377a, v40
	v_add_f32_e32 v40, v41, v70
	v_sub_f32_e32 v41, v69, v70
	v_fmac_f32_e32 v37, 0x3f167918, v44
	v_add_f32_e32 v59, v24, v27
	s_delay_alu instid0(VALU_DEP_4) | instskip(NEXT) | instid1(VALU_DEP_4)
	v_dual_add_f32 v63, v1, v22 :: v_dual_add_f32 v38, v40, v71
	v_add_f32_e32 v40, v41, v45
	v_fma_f32 v41, -0.5, v46, v4
	v_fmac_f32_e32 v36, 0x3e9e377a, v43
	s_delay_alu instid0(VALU_DEP_4) | instskip(SKIP_1) | instid1(VALU_DEP_4)
	v_dual_sub_f32 v60, v25, v24 :: v_dual_add_f32 v43, v38, v74
	v_sub_f32_e32 v61, v84, v27
	v_fmamk_f32 v45, v44, 0x3f737871, v41
	v_fmac_f32_e32 v41, 0xbf737871, v44
	v_add_f32_e32 v46, v5, v72
	s_delay_alu instid0(VALU_DEP_4) | instskip(NEXT) | instid1(VALU_DEP_4)
	v_dual_add_f32 v62, v25, v84 :: v_dual_add_f32 v61, v60, v61
	v_dual_fmac_f32 v45, 0xbf167918, v42 :: v_dual_sub_f32 v4, v70, v69
	v_dual_fmac_f32 v37, 0x3e9e377a, v40 :: v_dual_sub_f32 v38, v71, v74
	v_dual_fmac_f32 v41, 0x3f167918, v42 :: v_dual_add_f32 v42, v72, v77
	v_fmac_f32_e32 v39, 0x3e9e377a, v40
	ds_store_2addr_b64 v203, v[16:17], v[33:34] offset1:39
	v_add_f32_e32 v4, v4, v38
	v_fma_f32 v38, -0.5, v47, v5
	v_dual_sub_f32 v47, v77, v76 :: v_dual_add_f32 v44, v46, v73
	s_delay_alu instid0(VALU_DEP_3) | instskip(NEXT) | instid1(VALU_DEP_3)
	v_dual_sub_f32 v46, v72, v73 :: v_dual_fmac_f32 v45, 0x3e9e377a, v4
	v_fmamk_f32 v40, v48, 0x3f737871, v38
	v_fmac_f32_e32 v41, 0x3e9e377a, v4
	v_fma_f32 v42, -0.5, v42, v5
	s_delay_alu instid0(VALU_DEP_4) | instskip(SKIP_4) | instid1(VALU_DEP_4)
	v_dual_sub_f32 v5, v73, v72 :: v_dual_add_f32 v4, v46, v47
	v_dual_fmac_f32 v38, 0xbf737871, v48 :: v_dual_sub_f32 v47, v76, v77
	v_add_f32_e32 v44, v44, v76
	v_fmac_f32_e32 v40, 0x3f167918, v50
	v_add_nc_u32_e32 v16, 0x1200, v203
	v_dual_fmac_f32 v38, 0xbf167918, v50 :: v_dual_add_f32 v5, v5, v47
	v_fma_f32 v47, -0.5, v52, v6
	v_sub_f32_e32 v52, v75, v79
	v_fma_f32 v6, -0.5, v56, v6
	v_add_f32_e32 v56, v81, v82
	s_delay_alu instid0(VALU_DEP_3)
	v_dual_add_f32 v57, v52, v54 :: v_dual_fmac_f32 v40, 0x3e9e377a, v4
	v_fmac_f32_e32 v38, 0x3e9e377a, v4
	v_add_f32_e32 v4, v53, v79
	v_dual_sub_f32 v53, v81, v82 :: v_dual_fmamk_f32 v46, v50, 0xbf737871, v42
	v_fmac_f32_e32 v42, 0x3f737871, v50
	v_fmamk_f32 v50, v55, 0xbf737871, v47
	s_delay_alu instid0(VALU_DEP_4) | instskip(NEXT) | instid1(VALU_DEP_4)
	v_dual_fmac_f32 v47, 0x3f737871, v55 :: v_dual_add_f32 v4, v4, v80
	v_fmamk_f32 v54, v53, 0x3f737871, v6
	s_delay_alu instid0(VALU_DEP_4) | instskip(NEXT) | instid1(VALU_DEP_4)
	v_fmac_f32_e32 v42, 0xbf167918, v48
	v_fmac_f32_e32 v50, 0xbf167918, v53
	s_delay_alu instid0(VALU_DEP_4)
	v_fmac_f32_e32 v47, 0x3f167918, v53
	v_fmac_f32_e32 v6, 0xbf737871, v53
	v_add_f32_e32 v52, v4, v51
	v_fmac_f32_e32 v42, 0x3e9e377a, v5
	v_fmac_f32_e32 v50, 0x3e9e377a, v57
	;; [unrolled: 1-line block ×3, first 2 shown]
	v_dual_sub_f32 v57, v83, v82 :: v_dual_fmac_f32 v46, 0x3f167918, v48
	v_sub_f32_e32 v4, v79, v75
	v_add_f32_e32 v48, v7, v78
	v_fmac_f32_e32 v54, 0xbf167918, v55
	v_dual_fmac_f32 v6, 0x3f167918, v55 :: v_dual_sub_f32 v55, v78, v81
	v_dual_fmac_f32 v46, 0x3e9e377a, v5 :: v_dual_sub_f32 v5, v80, v51
	s_delay_alu instid0(VALU_DEP_1) | instskip(SKIP_3) | instid1(VALU_DEP_4)
	v_dual_add_f32 v53, v78, v83 :: v_dual_add_f32 v4, v4, v5
	v_add_f32_e32 v5, v48, v81
	v_add_f32_e32 v44, v44, v77
	v_fma_f32 v48, -0.5, v56, v7
	v_dual_sub_f32 v56, v79, v80 :: v_dual_fmac_f32 v7, -0.5, v53
	s_delay_alu instid0(VALU_DEP_4) | instskip(SKIP_1) | instid1(VALU_DEP_3)
	v_dual_add_f32 v5, v5, v82 :: v_dual_fmac_f32 v54, 0x3e9e377a, v4
	v_fmac_f32_e32 v6, 0x3e9e377a, v4
	v_dual_add_f32 v4, v55, v57 :: v_dual_fmamk_f32 v55, v56, 0xbf737871, v7
	s_delay_alu instid0(VALU_DEP_3) | instskip(SKIP_3) | instid1(VALU_DEP_2)
	v_add_f32_e32 v53, v5, v83
	v_sub_f32_e32 v5, v81, v78
	v_sub_f32_e32 v57, v82, v83
	v_fmac_f32_e32 v7, 0x3f737871, v56
	v_add_f32_e32 v5, v5, v57
	s_delay_alu instid0(VALU_DEP_2) | instskip(SKIP_1) | instid1(VALU_DEP_2)
	v_fmac_f32_e32 v7, 0xbf167918, v58
	v_add_f32_e32 v57, v0, v25
	v_fmac_f32_e32 v7, 0x3e9e377a, v5
	v_fmamk_f32 v51, v58, 0x3f737871, v48
	v_fmac_f32_e32 v48, 0xbf737871, v58
	v_fmac_f32_e32 v55, 0x3f167918, v58
	s_delay_alu instid0(VALU_DEP_3) | instskip(NEXT) | instid1(VALU_DEP_3)
	v_fmac_f32_e32 v51, 0x3f167918, v56
	v_fmac_f32_e32 v48, 0xbf167918, v56
	v_fma_f32 v56, -0.5, v59, v0
	v_sub_f32_e32 v59, v22, v28
	v_fmac_f32_e32 v55, 0x3e9e377a, v5
	v_fmac_f32_e32 v51, 0x3e9e377a, v4
	;; [unrolled: 1-line block ×3, first 2 shown]
	v_add_f32_e32 v4, v57, v24
	v_fmamk_f32 v58, v59, 0xbf737871, v56
	v_dual_sub_f32 v57, v23, v26 :: v_dual_fmac_f32 v56, 0x3f737871, v59
	v_sub_f32_e32 v5, v24, v25
	v_sub_f32_e32 v24, v24, v27
	v_add_f32_e32 v4, v4, v27
	s_delay_alu instid0(VALU_DEP_4) | instskip(SKIP_2) | instid1(VALU_DEP_4)
	v_fmac_f32_e32 v58, 0xbf167918, v57
	v_fmac_f32_e32 v56, 0x3f167918, v57
	v_fma_f32 v0, -0.5, v62, v0
	v_add_f32_e32 v60, v4, v84
	s_delay_alu instid0(VALU_DEP_4) | instskip(NEXT) | instid1(VALU_DEP_4)
	v_fmac_f32_e32 v58, 0x3e9e377a, v61
	v_dual_fmac_f32 v56, 0x3e9e377a, v61 :: v_dual_sub_f32 v61, v27, v84
	v_add_f32_e32 v4, v23, v26
	v_fmamk_f32 v62, v57, 0x3f737871, v0
	v_dual_fmac_f32 v0, 0xbf737871, v57 :: v_dual_sub_f32 v27, v28, v26
	s_delay_alu instid0(VALU_DEP_4)
	v_add_f32_e32 v5, v5, v61
	v_add_f32_e32 v61, v22, v28
	v_fma_f32 v57, -0.5, v4, v1
	v_sub_f32_e32 v4, v25, v84
	v_fmac_f32_e32 v0, 0x3f167918, v59
	v_add_f32_e32 v25, v63, v23
	v_fmac_f32_e32 v1, -0.5, v61
	s_delay_alu instid0(VALU_DEP_3) | instskip(NEXT) | instid1(VALU_DEP_2)
	v_fmac_f32_e32 v0, 0x3e9e377a, v5
	v_fmamk_f32 v63, v24, 0xbf737871, v1
	v_fmac_f32_e32 v1, 0x3f737871, v24
	v_fmac_f32_e32 v62, 0xbf167918, v59
	s_delay_alu instid0(VALU_DEP_1) | instskip(SKIP_2) | instid1(VALU_DEP_3)
	v_dual_fmac_f32 v62, 0x3e9e377a, v5 :: v_dual_add_f32 v5, v25, v26
	v_dual_sub_f32 v25, v22, v23 :: v_dual_sub_f32 v22, v23, v22
	v_sub_f32_e32 v23, v26, v28
	v_add_f32_e32 v61, v5, v28
	v_add_nc_u32_e32 v5, 0x600, v203
	v_fmamk_f32 v59, v4, 0x3f737871, v57
	v_fmac_f32_e32 v57, 0xbf737871, v4
	v_fmac_f32_e32 v63, 0x3f167918, v4
	;; [unrolled: 1-line block ×3, first 2 shown]
	v_add_nc_u32_e32 v4, 0xc00, v203
	ds_store_2addr_b64 v5, v[31:32], v[14:15] offset0:42 offset1:198
	v_add_nc_u32_e32 v5, 0x600, v127
	v_add_f32_e32 v22, v22, v23
	v_add_nc_u32_e32 v14, 0x1200, v127
	v_add_f32_e32 v25, v25, v27
	ds_store_2addr_b64 v4, v[35:36], v[8:9] offset0:45 offset1:201
	ds_store_2addr_b64 v16, v[10:11], v[12:13] offset0:48 offset1:204
	ds_store_b64 v203, v[29:30] offset:6552
	ds_store_2addr_b64 v5, v[39:40], v[45:46] offset0:3 offset1:198
	ds_store_2addr_b64 v14, v[41:42], v[37:38] offset0:9 offset1:204
	v_add_nc_u32_e32 v5, 0x600, v126
	v_fmac_f32_e32 v1, 0x3e9e377a, v22
	v_fmac_f32_e32 v59, 0x3f167918, v24
	;; [unrolled: 1-line block ×4, first 2 shown]
	v_add_nc_u32_e32 v9, 0x600, v49
	v_add_nc_u32_e32 v10, 0x1200, v49
	v_fmac_f32_e32 v59, 0x3e9e377a, v25
	v_fmac_f32_e32 v57, 0x3e9e377a, v25
	v_mad_co_u64_u32 v[24:25], null, s6, v182, 0
	v_add_nc_u32_e32 v8, 0x1200, v126
	ds_store_2addr_b64 v203, v[43:44], v[52:53] offset0:78 offset1:117
	ds_store_2addr_b64 v5, v[50:51], v[54:55] offset0:3 offset1:198
	;; [unrolled: 1-line block ×6, first 2 shown]
	global_wb scope:SCOPE_SE
	s_wait_dscnt 0x0
	s_barrier_signal -1
	s_barrier_wait -1
	global_inv scope:SCOPE_SE
	s_clause 0x1
	scratch_load_b64 v[44:45], off, off offset:16 th:TH_LOAD_LU
	scratch_load_b64 v[53:54], off, off offset:24 th:TH_LOAD_LU
	ds_load_2addr_b64 v[0:3], v203 offset1:75
	v_mad_co_u64_u32 v[26:27], null, s4, v187, 0
	s_clause 0x1
	scratch_load_b64 v[51:52], off, off th:TH_LOAD_LU
	scratch_load_b64 v[57:58], off, off offset:8 th:TH_LOAD_LU
	s_wait_dscnt 0x0
	v_mul_f32_e32 v5, v196, v1
	v_mul_f32_e32 v9, v198, v3
	;; [unrolled: 1-line block ×3, first 2 shown]
	s_delay_alu instid0(VALU_DEP_3) | instskip(NEXT) | instid1(VALU_DEP_3)
	v_fmac_f32_e32 v5, v195, v0
	v_dual_mul_f32 v0, v196, v0 :: v_dual_fmac_f32 v9, v197, v2
	s_delay_alu instid0(VALU_DEP_2) | instskip(NEXT) | instid1(VALU_DEP_2)
	v_cvt_f64_f32_e32 v[5:6], v5
	v_fma_f32 v0, v195, v1, -v0
	v_fma_f32 v1, v197, v3, -v7
	s_delay_alu instid0(VALU_DEP_4) | instskip(NEXT) | instid1(VALU_DEP_3)
	v_cvt_f64_f32_e32 v[9:10], v9
	v_cvt_f64_f32_e32 v[7:8], v0
	s_delay_alu instid0(VALU_DEP_3)
	v_cvt_f64_f32_e32 v[11:12], v1
	ds_load_2addr_b64 v[0:3], v203 offset0:150 offset1:225
	s_wait_alu 0xfffe
	v_mul_f64_e32 v[13:14], s[2:3], v[5:6]
	s_wait_dscnt 0x0
	v_mul_f32_e32 v5, v194, v1
	v_mul_f32_e32 v6, v194, v0
	v_mul_f64_e32 v[9:10], s[2:3], v[9:10]
	s_delay_alu instid0(VALU_DEP_3) | instskip(SKIP_3) | instid1(VALU_DEP_4)
	v_fmac_f32_e32 v5, v193, v0
	v_mul_f64_e32 v[15:16], s[2:3], v[7:8]
	v_mul_f64_e32 v[11:12], s[2:3], v[11:12]
	v_fma_f32 v6, v193, v1, -v6
	v_cvt_f64_f32_e32 v[0:1], v5
	v_mov_b32_e32 v5, v25
	s_delay_alu instid0(VALU_DEP_3) | instskip(SKIP_1) | instid1(VALU_DEP_1)
	v_cvt_f64_f32_e32 v[22:23], v6
	v_mov_b32_e32 v6, v27
	v_mad_co_u64_u32 v[27:28], null, s7, v182, v[5:6]
	v_mad_co_u64_u32 v[28:29], null, s5, v187, v[6:7]
	ds_load_2addr_b64 v[5:8], v20 offset0:44 offset1:119
	s_mul_u64 s[6:7], s[4:5], 0x4b
	s_wait_alu 0xfffe
	s_lshl_b64 s[6:7], s[6:7], 3
	v_mov_b32_e32 v25, v27
	v_mov_b32_e32 v27, v28
	s_delay_alu instid0(VALU_DEP_2) | instskip(NEXT) | instid1(VALU_DEP_2)
	v_lshlrev_b64_e32 v[24:25], 3, v[24:25]
	v_lshlrev_b64_e32 v[26:27], 3, v[26:27]
	v_cvt_f32_f64_e32 v28, v[13:14]
	v_mul_f32_e32 v13, v190, v3
	v_mul_f32_e32 v14, v190, v2
	v_cvt_f32_f64_e32 v30, v[9:10]
	s_wait_dscnt 0x0
	s_delay_alu instid0(VALU_DEP_3)
	v_dual_fmac_f32 v13, v189, v2 :: v_dual_mul_f32 v2, v192, v5
	v_cvt_f32_f64_e32 v29, v[15:16]
	v_cvt_f32_f64_e32 v31, v[11:12]
	ds_load_2addr_b64 v[9:12], v4 offset0:66 offset1:141
	v_mul_f64_e32 v[32:33], s[2:3], v[0:1]
	v_add_nc_u32_e32 v15, 0x1400, v203
	v_fma_f32 v1, v189, v3, -v14
	v_mul_f32_e32 v0, v192, v6
	v_cvt_f64_f32_e32 v[34:35], v13
	v_fma_f32 v13, v191, v6, -v2
	v_mul_f64_e32 v[22:23], s[2:3], v[22:23]
	v_cvt_f64_f32_e32 v[36:37], v1
	s_delay_alu instid0(VALU_DEP_3) | instskip(SKIP_1) | instid1(VALU_DEP_4)
	v_cvt_f64_f32_e32 v[38:39], v13
	v_cvt_f32_f64_e32 v32, v[32:33]
	v_cvt_f32_f64_e32 v33, v[22:23]
	s_wait_loadcnt 0x3
	v_mul_f32_e32 v14, v45, v8
	s_delay_alu instid0(VALU_DEP_1) | instskip(SKIP_3) | instid1(VALU_DEP_1)
	v_fmac_f32_e32 v14, v44, v7
	v_mul_f32_e32 v7, v45, v7
	scratch_load_b64 v[45:46], off, off offset:32 th:TH_LOAD_LU ; 8-byte Folded Reload
	v_fma_f32 v7, v44, v8, -v7
	v_cvt_f64_f32_e32 v[7:8], v7
	s_delay_alu instid0(VALU_DEP_1)
	v_mul_f64_e32 v[7:8], s[2:3], v[7:8]
	s_wait_loadcnt_dscnt 0x0
	v_mul_f32_e32 v17, v46, v10
	v_mul_f32_e32 v42, v46, v9
	scratch_load_b64 v[46:47], off, off offset:40 th:TH_LOAD_LU ; 8-byte Folded Reload
	v_fmac_f32_e32 v17, v45, v9
	v_fma_f32 v42, v45, v10, -v42
	s_delay_alu instid0(VALU_DEP_2) | instskip(NEXT) | instid1(VALU_DEP_1)
	v_cvt_f64_f32_e32 v[9:10], v17
	v_mul_f64_e32 v[9:10], s[2:3], v[9:10]
	s_wait_loadcnt 0x0
	v_mul_f32_e32 v43, v47, v12
	v_fmac_f32_e32 v0, v191, v5
	v_cvt_f64_f32_e32 v[40:41], v14
	ds_load_2addr_b64 v[13:16], v15 offset0:110 offset1:185
	v_mul_f32_e32 v44, v47, v11
	v_fmac_f32_e32 v43, v46, v11
	v_cvt_f64_f32_e32 v[5:6], v0
	ds_load_2addr_b64 v[0:3], v19 offset0:88 offset1:163
	v_fma_f32 v46, v46, v12, -v44
	ds_load_b64 v[44:45], v203 offset:7200
	v_cvt_f64_f32_e32 v[11:12], v42
	v_cvt_f64_f32_e32 v[42:43], v43
	;; [unrolled: 1-line block ×3, first 2 shown]
	s_wait_dscnt 0x1
	v_dual_mul_f32 v17, v52, v1 :: v_dual_mul_f32 v50, v54, v2
	v_dual_mul_f32 v48, v52, v0 :: v_dual_mul_f32 v49, v54, v3
	s_delay_alu instid0(VALU_DEP_2) | instskip(SKIP_1) | instid1(VALU_DEP_3)
	v_dual_mul_f32 v52, v58, v14 :: v_dual_fmac_f32 v17, v51, v0
	v_mul_f32_e32 v54, v184, v15
	v_fma_f32 v48, v51, v1, -v48
	s_delay_alu instid0(VALU_DEP_4)
	v_fmac_f32_e32 v49, v53, v2
	s_wait_dscnt 0x0
	v_mul_f32_e32 v55, v186, v45
	v_cvt_f64_f32_e32 v[0:1], v17
	v_dual_mul_f32 v17, v184, v16 :: v_dual_fmac_f32 v52, v57, v13
	v_mul_f32_e32 v13, v58, v13
	v_mul_f32_e32 v56, v186, v44
	v_fma_f32 v50, v53, v3, -v50
	s_delay_alu instid0(VALU_DEP_4)
	v_fmac_f32_e32 v17, v183, v15
	v_fma_f32 v54, v183, v16, -v54
	v_fma_f32 v13, v57, v14, -v13
	v_fmac_f32_e32 v55, v185, v44
	v_fma_f32 v56, v185, v45, -v56
	v_cvt_f64_f32_e32 v[2:3], v48
	v_cvt_f64_f32_e32 v[48:49], v49
	;; [unrolled: 1-line block ×9, first 2 shown]
	v_add_co_u32 v17, s0, s10, v24
	s_wait_alu 0xf1ff
	v_add_co_ci_u32_e64 v58, s0, s11, v25, s0
	v_mul_f64_e32 v[24:25], s[2:3], v[34:35]
	v_mul_f64_e32 v[34:35], s[2:3], v[36:37]
	;; [unrolled: 1-line block ×6, first 2 shown]
	v_add_co_u32 v26, s0, v17, v26
	s_wait_alu 0xf1ff
	v_add_co_ci_u32_e64 v27, s0, v58, v27, s0
	s_wait_alu 0xfffe
	s_delay_alu instid0(VALU_DEP_2) | instskip(SKIP_1) | instid1(VALU_DEP_2)
	v_add_co_u32 v38, s0, v26, s6
	s_wait_alu 0xf1ff
	v_add_co_ci_u32_e64 v39, s0, s7, v27, s0
	s_clause 0x1
	global_store_b64 v[26:27], v[28:29], off
	global_store_b64 v[38:39], v[30:31], off
	v_mul_f64_e32 v[26:27], s[2:3], v[42:43]
	v_mul_f64_e32 v[28:29], s[2:3], v[46:47]
	;; [unrolled: 1-line block ×3, first 2 shown]
	v_add_co_u32 v22, s0, v38, s6
	s_wait_alu 0xf1ff
	v_add_co_ci_u32_e64 v23, s0, s7, v39, s0
	v_mul_f64_e32 v[2:3], s[2:3], v[2:3]
	v_mul_f64_e32 v[30:31], s[2:3], v[48:49]
	;; [unrolled: 1-line block ×9, first 2 shown]
	v_cvt_f32_f64_e32 v39, v[7:8]
	v_cvt_f32_f64_e32 v7, v[9:10]
	global_store_b64 v[22:23], v[32:33], off
	v_cvt_f32_f64_e32 v24, v[24:25]
	v_cvt_f32_f64_e32 v25, v[34:35]
	;; [unrolled: 1-line block ×5, first 2 shown]
	v_add_co_u32 v34, s0, v22, s6
	s_wait_alu 0xf1ff
	v_add_co_ci_u32_e64 v35, s0, s7, v23, s0
	v_cvt_f32_f64_e32 v8, v[11:12]
	s_delay_alu instid0(VALU_DEP_3) | instskip(SKIP_1) | instid1(VALU_DEP_3)
	v_add_co_u32 v36, s0, v34, s6
	s_wait_alu 0xf1ff
	v_add_co_ci_u32_e64 v37, s0, s7, v35, s0
	s_delay_alu instid0(VALU_DEP_2) | instskip(SKIP_1) | instid1(VALU_DEP_2)
	v_add_co_u32 v9, s0, v36, s6
	s_wait_alu 0xf1ff
	v_add_co_ci_u32_e64 v10, s0, s7, v37, s0
	v_cvt_f32_f64_e32 v11, v[26:27]
	v_cvt_f32_f64_e32 v12, v[28:29]
	;; [unrolled: 1-line block ×3, first 2 shown]
	v_add_co_u32 v0, s0, v9, s6
	s_wait_alu 0xf1ff
	v_add_co_ci_u32_e64 v1, s0, s7, v10, s0
	v_cvt_f32_f64_e32 v27, v[2:3]
	v_cvt_f32_f64_e32 v2, v[30:31]
	;; [unrolled: 1-line block ×9, first 2 shown]
	v_add_co_u32 v22, s0, v0, s6
	s_wait_alu 0xf1ff
	v_add_co_ci_u32_e64 v23, s0, s7, v1, s0
	global_store_b64 v[34:35], v[24:25], off
	v_add_co_u32 v24, s0, v22, s6
	s_wait_alu 0xf1ff
	v_add_co_ci_u32_e64 v25, s0, s7, v23, s0
	global_store_b64 v[36:37], v[5:6], off
	;; [unrolled: 4-line block ×6, first 2 shown]
	global_store_b64 v[5:6], v[2:3], off
	global_store_b64 v[9:10], v[28:29], off
	;; [unrolled: 1-line block ×4, first 2 shown]
	s_and_b32 exec_lo, exec_lo, vcc_lo
	s_cbranch_execz .LBB0_23
; %bb.22:
	global_load_b64 v[2:3], v[168:169], off offset:312
	ds_load_2addr_b64 v[5:8], v203 offset0:39 offset1:114
	v_mad_co_u64_u32 v[0:1], null, 0xffffe518, s4, v[0:1]
	s_mul_i32 s0, s5, 0xffffe518
	s_wait_alu 0xfffe
	s_sub_co_i32 s0, s0, s4
	s_wait_alu 0xfffe
	s_delay_alu instid0(VALU_DEP_1) | instskip(SKIP_3) | instid1(VALU_DEP_2)
	v_add_nc_u32_e32 v1, s0, v1
	s_wait_loadcnt_dscnt 0x0
	v_mul_f32_e32 v9, v6, v3
	v_mul_f32_e32 v3, v5, v3
	v_fmac_f32_e32 v9, v5, v2
	s_delay_alu instid0(VALU_DEP_2) | instskip(NEXT) | instid1(VALU_DEP_2)
	v_fma_f32 v5, v2, v6, -v3
	v_cvt_f64_f32_e32 v[2:3], v9
	s_delay_alu instid0(VALU_DEP_2) | instskip(NEXT) | instid1(VALU_DEP_2)
	v_cvt_f64_f32_e32 v[5:6], v5
	v_mul_f64_e32 v[2:3], s[2:3], v[2:3]
	s_delay_alu instid0(VALU_DEP_2) | instskip(NEXT) | instid1(VALU_DEP_2)
	v_mul_f64_e32 v[5:6], s[2:3], v[5:6]
	v_cvt_f32_f64_e32 v2, v[2:3]
	s_delay_alu instid0(VALU_DEP_2)
	v_cvt_f32_f64_e32 v3, v[5:6]
	global_store_b64 v[0:1], v[2:3], off
	global_load_b64 v[2:3], v[168:169], off offset:912
	s_wait_loadcnt 0x0
	v_mul_f32_e32 v5, v8, v3
	v_mul_f32_e32 v3, v7, v3
	s_delay_alu instid0(VALU_DEP_2) | instskip(NEXT) | instid1(VALU_DEP_2)
	v_fmac_f32_e32 v5, v7, v2
	v_fma_f32 v6, v2, v8, -v3
	s_delay_alu instid0(VALU_DEP_2) | instskip(NEXT) | instid1(VALU_DEP_2)
	v_cvt_f64_f32_e32 v[2:3], v5
	v_cvt_f64_f32_e32 v[5:6], v6
	s_delay_alu instid0(VALU_DEP_2) | instskip(NEXT) | instid1(VALU_DEP_2)
	v_mul_f64_e32 v[2:3], s[2:3], v[2:3]
	v_mul_f64_e32 v[5:6], s[2:3], v[5:6]
	s_delay_alu instid0(VALU_DEP_2) | instskip(NEXT) | instid1(VALU_DEP_2)
	v_cvt_f32_f64_e32 v2, v[2:3]
	v_cvt_f32_f64_e32 v3, v[5:6]
	v_add_co_u32 v5, vcc_lo, v0, s6
	s_wait_alu 0xfffd
	v_add_co_ci_u32_e32 v6, vcc_lo, s7, v1, vcc_lo
	global_store_b64 v[5:6], v[2:3], off
	global_load_b64 v[7:8], v[168:169], off offset:1512
	ds_load_2addr_b64 v[0:3], v21 offset0:61 offset1:136
	v_add_co_u32 v5, vcc_lo, v5, s6
	s_wait_alu 0xfffd
	v_add_co_ci_u32_e32 v6, vcc_lo, s7, v6, vcc_lo
	s_wait_loadcnt_dscnt 0x0
	v_mul_f32_e32 v9, v1, v8
	v_mul_f32_e32 v8, v0, v8
	s_delay_alu instid0(VALU_DEP_2) | instskip(NEXT) | instid1(VALU_DEP_2)
	v_fmac_f32_e32 v9, v0, v7
	v_fma_f32 v7, v7, v1, -v8
	s_delay_alu instid0(VALU_DEP_2) | instskip(NEXT) | instid1(VALU_DEP_2)
	v_cvt_f64_f32_e32 v[0:1], v9
	v_cvt_f64_f32_e32 v[7:8], v7
	s_delay_alu instid0(VALU_DEP_2) | instskip(NEXT) | instid1(VALU_DEP_2)
	v_mul_f64_e32 v[0:1], s[2:3], v[0:1]
	v_mul_f64_e32 v[7:8], s[2:3], v[7:8]
	s_delay_alu instid0(VALU_DEP_2) | instskip(NEXT) | instid1(VALU_DEP_2)
	v_cvt_f32_f64_e32 v0, v[0:1]
	v_cvt_f32_f64_e32 v1, v[7:8]
	global_store_b64 v[5:6], v[0:1], off
	global_load_b64 v[0:1], v[168:169], off offset:2112
	v_add_co_u32 v5, vcc_lo, v5, s6
	s_wait_alu 0xfffd
	v_add_co_ci_u32_e32 v6, vcc_lo, s7, v6, vcc_lo
	s_wait_loadcnt 0x0
	v_mul_f32_e32 v7, v3, v1
	v_mul_f32_e32 v1, v2, v1
	s_delay_alu instid0(VALU_DEP_2) | instskip(NEXT) | instid1(VALU_DEP_2)
	v_fmac_f32_e32 v7, v2, v0
	v_fma_f32 v2, v0, v3, -v1
	s_delay_alu instid0(VALU_DEP_2) | instskip(NEXT) | instid1(VALU_DEP_2)
	v_cvt_f64_f32_e32 v[0:1], v7
	v_cvt_f64_f32_e32 v[2:3], v2
	s_delay_alu instid0(VALU_DEP_2) | instskip(NEXT) | instid1(VALU_DEP_2)
	v_mul_f64_e32 v[0:1], s[2:3], v[0:1]
	v_mul_f64_e32 v[2:3], s[2:3], v[2:3]
	s_delay_alu instid0(VALU_DEP_2) | instskip(NEXT) | instid1(VALU_DEP_2)
	v_cvt_f32_f64_e32 v0, v[0:1]
	v_cvt_f32_f64_e32 v1, v[2:3]
	global_store_b64 v[5:6], v[0:1], off
	global_load_b64 v[7:8], v[168:169], off offset:2712
	ds_load_2addr_b64 v[0:3], v20 offset0:83 offset1:158
	v_add_co_u32 v5, vcc_lo, v5, s6
	s_wait_alu 0xfffd
	v_add_co_ci_u32_e32 v6, vcc_lo, s7, v6, vcc_lo
	s_wait_loadcnt_dscnt 0x0
	v_mul_f32_e32 v9, v1, v8
	v_mul_f32_e32 v8, v0, v8
	s_delay_alu instid0(VALU_DEP_2) | instskip(NEXT) | instid1(VALU_DEP_2)
	v_fmac_f32_e32 v9, v0, v7
	v_fma_f32 v7, v7, v1, -v8
	s_delay_alu instid0(VALU_DEP_2) | instskip(NEXT) | instid1(VALU_DEP_2)
	v_cvt_f64_f32_e32 v[0:1], v9
	v_cvt_f64_f32_e32 v[7:8], v7
	s_delay_alu instid0(VALU_DEP_2) | instskip(NEXT) | instid1(VALU_DEP_2)
	v_mul_f64_e32 v[0:1], s[2:3], v[0:1]
	v_mul_f64_e32 v[7:8], s[2:3], v[7:8]
	s_delay_alu instid0(VALU_DEP_2) | instskip(NEXT) | instid1(VALU_DEP_2)
	v_cvt_f32_f64_e32 v0, v[0:1]
	v_cvt_f32_f64_e32 v1, v[7:8]
	global_store_b64 v[5:6], v[0:1], off
	global_load_b64 v[0:1], v[168:169], off offset:3312
	v_add_co_u32 v5, vcc_lo, v5, s6
	s_wait_alu 0xfffd
	v_add_co_ci_u32_e32 v6, vcc_lo, s7, v6, vcc_lo
	s_wait_loadcnt 0x0
	v_mul_f32_e32 v7, v3, v1
	v_mul_f32_e32 v1, v2, v1
	s_delay_alu instid0(VALU_DEP_2) | instskip(NEXT) | instid1(VALU_DEP_2)
	v_fmac_f32_e32 v7, v2, v0
	v_fma_f32 v2, v0, v3, -v1
	s_delay_alu instid0(VALU_DEP_2) | instskip(NEXT) | instid1(VALU_DEP_2)
	v_cvt_f64_f32_e32 v[0:1], v7
	v_cvt_f64_f32_e32 v[2:3], v2
	s_delay_alu instid0(VALU_DEP_2) | instskip(NEXT) | instid1(VALU_DEP_2)
	v_mul_f64_e32 v[0:1], s[2:3], v[0:1]
	v_mul_f64_e32 v[2:3], s[2:3], v[2:3]
	s_delay_alu instid0(VALU_DEP_2) | instskip(NEXT) | instid1(VALU_DEP_2)
	v_cvt_f32_f64_e32 v0, v[0:1]
	v_cvt_f32_f64_e32 v1, v[2:3]
	global_store_b64 v[5:6], v[0:1], off
	global_load_b64 v[7:8], v[168:169], off offset:3912
	ds_load_2addr_b64 v[0:3], v4 offset0:105 offset1:180
	s_wait_loadcnt_dscnt 0x0
	v_mul_f32_e32 v4, v1, v8
	v_mul_f32_e32 v8, v0, v8
	s_delay_alu instid0(VALU_DEP_2) | instskip(NEXT) | instid1(VALU_DEP_2)
	v_fmac_f32_e32 v4, v0, v7
	v_fma_f32 v7, v7, v1, -v8
	s_delay_alu instid0(VALU_DEP_2) | instskip(NEXT) | instid1(VALU_DEP_2)
	v_cvt_f64_f32_e32 v[0:1], v4
	v_cvt_f64_f32_e32 v[7:8], v7
	v_add_co_u32 v4, vcc_lo, v5, s6
	s_wait_alu 0xfffd
	v_add_co_ci_u32_e32 v5, vcc_lo, s7, v6, vcc_lo
	s_delay_alu instid0(VALU_DEP_4) | instskip(NEXT) | instid1(VALU_DEP_4)
	v_mul_f64_e32 v[0:1], s[2:3], v[0:1]
	v_mul_f64_e32 v[7:8], s[2:3], v[7:8]
	s_delay_alu instid0(VALU_DEP_2) | instskip(NEXT) | instid1(VALU_DEP_2)
	v_cvt_f32_f64_e32 v0, v[0:1]
	v_cvt_f32_f64_e32 v1, v[7:8]
	global_store_b64 v[4:5], v[0:1], off
	global_load_b64 v[0:1], v[168:169], off offset:4512
	v_add_co_u32 v4, vcc_lo, v4, s6
	s_wait_alu 0xfffd
	v_add_co_ci_u32_e32 v5, vcc_lo, s7, v5, vcc_lo
	s_wait_loadcnt 0x0
	v_mul_f32_e32 v6, v3, v1
	v_mul_f32_e32 v1, v2, v1
	s_delay_alu instid0(VALU_DEP_2) | instskip(NEXT) | instid1(VALU_DEP_2)
	v_fmac_f32_e32 v6, v2, v0
	v_fma_f32 v2, v0, v3, -v1
	s_delay_alu instid0(VALU_DEP_2) | instskip(NEXT) | instid1(VALU_DEP_2)
	v_cvt_f64_f32_e32 v[0:1], v6
	v_cvt_f64_f32_e32 v[2:3], v2
	s_delay_alu instid0(VALU_DEP_2) | instskip(NEXT) | instid1(VALU_DEP_2)
	v_mul_f64_e32 v[0:1], s[2:3], v[0:1]
	v_mul_f64_e32 v[2:3], s[2:3], v[2:3]
	s_delay_alu instid0(VALU_DEP_2) | instskip(NEXT) | instid1(VALU_DEP_2)
	v_cvt_f32_f64_e32 v0, v[0:1]
	v_cvt_f32_f64_e32 v1, v[2:3]
	global_store_b64 v[4:5], v[0:1], off
	global_load_b64 v[6:7], v[168:169], off offset:5112
	ds_load_2addr_b64 v[0:3], v19 offset0:127 offset1:202
	v_add_co_u32 v4, vcc_lo, v4, s6
	s_wait_alu 0xfffd
	v_add_co_ci_u32_e32 v5, vcc_lo, s7, v5, vcc_lo
	s_wait_loadcnt_dscnt 0x0
	v_mul_f32_e32 v8, v1, v7
	v_mul_f32_e32 v7, v0, v7
	s_delay_alu instid0(VALU_DEP_2) | instskip(NEXT) | instid1(VALU_DEP_2)
	v_fmac_f32_e32 v8, v0, v6
	v_fma_f32 v6, v6, v1, -v7
	s_delay_alu instid0(VALU_DEP_2) | instskip(NEXT) | instid1(VALU_DEP_2)
	v_cvt_f64_f32_e32 v[0:1], v8
	v_cvt_f64_f32_e32 v[6:7], v6
	s_delay_alu instid0(VALU_DEP_2) | instskip(NEXT) | instid1(VALU_DEP_2)
	v_mul_f64_e32 v[0:1], s[2:3], v[0:1]
	v_mul_f64_e32 v[6:7], s[2:3], v[6:7]
	s_delay_alu instid0(VALU_DEP_2) | instskip(NEXT) | instid1(VALU_DEP_2)
	v_cvt_f32_f64_e32 v0, v[0:1]
	v_cvt_f32_f64_e32 v1, v[6:7]
	global_store_b64 v[4:5], v[0:1], off
	global_load_b64 v[0:1], v[168:169], off offset:5712
	v_add_co_u32 v4, vcc_lo, v4, s6
	s_wait_alu 0xfffd
	v_add_co_ci_u32_e32 v5, vcc_lo, s7, v5, vcc_lo
	s_wait_loadcnt 0x0
	v_mul_f32_e32 v6, v3, v1
	v_mul_f32_e32 v1, v2, v1
	s_delay_alu instid0(VALU_DEP_2) | instskip(NEXT) | instid1(VALU_DEP_2)
	v_fmac_f32_e32 v6, v2, v0
	v_fma_f32 v2, v0, v3, -v1
	s_delay_alu instid0(VALU_DEP_2) | instskip(NEXT) | instid1(VALU_DEP_2)
	v_cvt_f64_f32_e32 v[0:1], v6
	v_cvt_f64_f32_e32 v[2:3], v2
	s_delay_alu instid0(VALU_DEP_2) | instskip(NEXT) | instid1(VALU_DEP_2)
	v_mul_f64_e32 v[0:1], s[2:3], v[0:1]
	v_mul_f64_e32 v[2:3], s[2:3], v[2:3]
	s_delay_alu instid0(VALU_DEP_2) | instskip(NEXT) | instid1(VALU_DEP_2)
	v_cvt_f32_f64_e32 v0, v[0:1]
	v_cvt_f32_f64_e32 v1, v[2:3]
	global_store_b64 v[4:5], v[0:1], off
	global_load_b64 v[6:7], v[168:169], off offset:6312
	ds_load_2addr_b64 v[0:3], v18 offset0:21 offset1:96
	v_add_co_u32 v4, vcc_lo, v4, s6
	s_wait_alu 0xfffd
	v_add_co_ci_u32_e32 v5, vcc_lo, s7, v5, vcc_lo
	s_wait_loadcnt_dscnt 0x0
	v_mul_f32_e32 v8, v1, v7
	v_mul_f32_e32 v7, v0, v7
	s_delay_alu instid0(VALU_DEP_2) | instskip(NEXT) | instid1(VALU_DEP_2)
	v_fmac_f32_e32 v8, v0, v6
	v_fma_f32 v6, v6, v1, -v7
	s_delay_alu instid0(VALU_DEP_2) | instskip(NEXT) | instid1(VALU_DEP_2)
	v_cvt_f64_f32_e32 v[0:1], v8
	v_cvt_f64_f32_e32 v[6:7], v6
	s_delay_alu instid0(VALU_DEP_2) | instskip(NEXT) | instid1(VALU_DEP_2)
	v_mul_f64_e32 v[0:1], s[2:3], v[0:1]
	v_mul_f64_e32 v[6:7], s[2:3], v[6:7]
	s_delay_alu instid0(VALU_DEP_2) | instskip(NEXT) | instid1(VALU_DEP_2)
	v_cvt_f32_f64_e32 v0, v[0:1]
	v_cvt_f32_f64_e32 v1, v[6:7]
	global_store_b64 v[4:5], v[0:1], off
	global_load_b64 v[0:1], v[168:169], off offset:6912
	s_wait_loadcnt 0x0
	v_mul_f32_e32 v6, v3, v1
	v_mul_f32_e32 v1, v2, v1
	s_delay_alu instid0(VALU_DEP_2) | instskip(NEXT) | instid1(VALU_DEP_2)
	v_fmac_f32_e32 v6, v2, v0
	v_fma_f32 v2, v0, v3, -v1
	s_delay_alu instid0(VALU_DEP_2) | instskip(NEXT) | instid1(VALU_DEP_2)
	v_cvt_f64_f32_e32 v[0:1], v6
	v_cvt_f64_f32_e32 v[2:3], v2
	s_delay_alu instid0(VALU_DEP_2) | instskip(NEXT) | instid1(VALU_DEP_2)
	v_mul_f64_e32 v[0:1], s[2:3], v[0:1]
	v_mul_f64_e32 v[2:3], s[2:3], v[2:3]
	s_delay_alu instid0(VALU_DEP_2) | instskip(NEXT) | instid1(VALU_DEP_2)
	v_cvt_f32_f64_e32 v0, v[0:1]
	v_cvt_f32_f64_e32 v1, v[2:3]
	v_add_co_u32 v2, vcc_lo, v4, s6
	s_wait_alu 0xfffd
	v_add_co_ci_u32_e32 v3, vcc_lo, s7, v5, vcc_lo
	ds_load_b64 v[4:5], v203 offset:7512
	global_store_b64 v[2:3], v[0:1], off
	global_load_b64 v[0:1], v[168:169], off offset:7512
	v_add_co_u32 v2, vcc_lo, v2, s6
	s_wait_alu 0xfffd
	v_add_co_ci_u32_e32 v3, vcc_lo, s7, v3, vcc_lo
	s_wait_loadcnt_dscnt 0x0
	v_mul_f32_e32 v6, v5, v1
	v_mul_f32_e32 v1, v4, v1
	s_delay_alu instid0(VALU_DEP_2) | instskip(NEXT) | instid1(VALU_DEP_2)
	v_fmac_f32_e32 v6, v4, v0
	v_fma_f32 v4, v0, v5, -v1
	s_delay_alu instid0(VALU_DEP_2) | instskip(NEXT) | instid1(VALU_DEP_2)
	v_cvt_f64_f32_e32 v[0:1], v6
	v_cvt_f64_f32_e32 v[4:5], v4
	s_delay_alu instid0(VALU_DEP_2) | instskip(NEXT) | instid1(VALU_DEP_2)
	v_mul_f64_e32 v[0:1], s[2:3], v[0:1]
	v_mul_f64_e32 v[4:5], s[2:3], v[4:5]
	s_delay_alu instid0(VALU_DEP_2) | instskip(NEXT) | instid1(VALU_DEP_2)
	v_cvt_f32_f64_e32 v0, v[0:1]
	v_cvt_f32_f64_e32 v1, v[4:5]
	global_store_b64 v[2:3], v[0:1], off
.LBB0_23:
	s_nop 0
	s_sendmsg sendmsg(MSG_DEALLOC_VGPRS)
	s_endpgm
	.section	.rodata,"a",@progbits
	.p2align	6, 0x0
	.amdhsa_kernel bluestein_single_back_len975_dim1_sp_op_CI_CI
		.amdhsa_group_segment_fixed_size 23400
		.amdhsa_private_segment_fixed_size 104
		.amdhsa_kernarg_size 104
		.amdhsa_user_sgpr_count 2
		.amdhsa_user_sgpr_dispatch_ptr 0
		.amdhsa_user_sgpr_queue_ptr 0
		.amdhsa_user_sgpr_kernarg_segment_ptr 1
		.amdhsa_user_sgpr_dispatch_id 0
		.amdhsa_user_sgpr_private_segment_size 0
		.amdhsa_wavefront_size32 1
		.amdhsa_uses_dynamic_stack 0
		.amdhsa_enable_private_segment 1
		.amdhsa_system_sgpr_workgroup_id_x 1
		.amdhsa_system_sgpr_workgroup_id_y 0
		.amdhsa_system_sgpr_workgroup_id_z 0
		.amdhsa_system_sgpr_workgroup_info 0
		.amdhsa_system_vgpr_workitem_id 0
		.amdhsa_next_free_vgpr 256
		.amdhsa_next_free_sgpr 17
		.amdhsa_reserve_vcc 1
		.amdhsa_float_round_mode_32 0
		.amdhsa_float_round_mode_16_64 0
		.amdhsa_float_denorm_mode_32 3
		.amdhsa_float_denorm_mode_16_64 3
		.amdhsa_fp16_overflow 0
		.amdhsa_workgroup_processor_mode 1
		.amdhsa_memory_ordered 1
		.amdhsa_forward_progress 0
		.amdhsa_round_robin_scheduling 0
		.amdhsa_exception_fp_ieee_invalid_op 0
		.amdhsa_exception_fp_denorm_src 0
		.amdhsa_exception_fp_ieee_div_zero 0
		.amdhsa_exception_fp_ieee_overflow 0
		.amdhsa_exception_fp_ieee_underflow 0
		.amdhsa_exception_fp_ieee_inexact 0
		.amdhsa_exception_int_div_zero 0
	.end_amdhsa_kernel
	.text
.Lfunc_end0:
	.size	bluestein_single_back_len975_dim1_sp_op_CI_CI, .Lfunc_end0-bluestein_single_back_len975_dim1_sp_op_CI_CI
                                        ; -- End function
	.section	.AMDGPU.csdata,"",@progbits
; Kernel info:
; codeLenInByte = 34888
; NumSgprs: 19
; NumVgprs: 256
; ScratchSize: 104
; MemoryBound: 0
; FloatMode: 240
; IeeeMode: 1
; LDSByteSize: 23400 bytes/workgroup (compile time only)
; SGPRBlocks: 2
; VGPRBlocks: 31
; NumSGPRsForWavesPerEU: 19
; NumVGPRsForWavesPerEU: 256
; Occupancy: 5
; WaveLimiterHint : 1
; COMPUTE_PGM_RSRC2:SCRATCH_EN: 1
; COMPUTE_PGM_RSRC2:USER_SGPR: 2
; COMPUTE_PGM_RSRC2:TRAP_HANDLER: 0
; COMPUTE_PGM_RSRC2:TGID_X_EN: 1
; COMPUTE_PGM_RSRC2:TGID_Y_EN: 0
; COMPUTE_PGM_RSRC2:TGID_Z_EN: 0
; COMPUTE_PGM_RSRC2:TIDIG_COMP_CNT: 0
	.text
	.p2alignl 7, 3214868480
	.fill 96, 4, 3214868480
	.type	__hip_cuid_47e3f58b9ec51572,@object ; @__hip_cuid_47e3f58b9ec51572
	.section	.bss,"aw",@nobits
	.globl	__hip_cuid_47e3f58b9ec51572
__hip_cuid_47e3f58b9ec51572:
	.byte	0                               ; 0x0
	.size	__hip_cuid_47e3f58b9ec51572, 1

	.ident	"AMD clang version 19.0.0git (https://github.com/RadeonOpenCompute/llvm-project roc-6.4.0 25133 c7fe45cf4b819c5991fe208aaa96edf142730f1d)"
	.section	".note.GNU-stack","",@progbits
	.addrsig
	.addrsig_sym __hip_cuid_47e3f58b9ec51572
	.amdgpu_metadata
---
amdhsa.kernels:
  - .args:
      - .actual_access:  read_only
        .address_space:  global
        .offset:         0
        .size:           8
        .value_kind:     global_buffer
      - .actual_access:  read_only
        .address_space:  global
        .offset:         8
        .size:           8
        .value_kind:     global_buffer
      - .actual_access:  read_only
        .address_space:  global
        .offset:         16
        .size:           8
        .value_kind:     global_buffer
      - .actual_access:  read_only
        .address_space:  global
        .offset:         24
        .size:           8
        .value_kind:     global_buffer
      - .actual_access:  read_only
        .address_space:  global
        .offset:         32
        .size:           8
        .value_kind:     global_buffer
      - .offset:         40
        .size:           8
        .value_kind:     by_value
      - .address_space:  global
        .offset:         48
        .size:           8
        .value_kind:     global_buffer
      - .address_space:  global
        .offset:         56
        .size:           8
        .value_kind:     global_buffer
      - .address_space:  global
        .offset:         64
        .size:           8
        .value_kind:     global_buffer
      - .address_space:  global
        .offset:         72
        .size:           8
        .value_kind:     global_buffer
      - .offset:         80
        .size:           4
        .value_kind:     by_value
      - .address_space:  global
        .offset:         88
        .size:           8
        .value_kind:     global_buffer
      - .address_space:  global
        .offset:         96
        .size:           8
        .value_kind:     global_buffer
    .group_segment_fixed_size: 23400
    .kernarg_segment_align: 8
    .kernarg_segment_size: 104
    .language:       OpenCL C
    .language_version:
      - 2
      - 0
    .max_flat_workgroup_size: 117
    .name:           bluestein_single_back_len975_dim1_sp_op_CI_CI
    .private_segment_fixed_size: 104
    .sgpr_count:     19
    .sgpr_spill_count: 0
    .symbol:         bluestein_single_back_len975_dim1_sp_op_CI_CI.kd
    .uniform_work_group_size: 1
    .uses_dynamic_stack: false
    .vgpr_count:     256
    .vgpr_spill_count: 25
    .wavefront_size: 32
    .workgroup_processor_mode: 1
amdhsa.target:   amdgcn-amd-amdhsa--gfx1201
amdhsa.version:
  - 1
  - 2
...

	.end_amdgpu_metadata
